;; amdgpu-corpus repo=ROCm/rocFFT kind=compiled arch=gfx950 opt=O3
	.text
	.amdgcn_target "amdgcn-amd-amdhsa--gfx950"
	.amdhsa_code_object_version 6
	.protected	bluestein_single_back_len363_dim1_sp_op_CI_CI ; -- Begin function bluestein_single_back_len363_dim1_sp_op_CI_CI
	.globl	bluestein_single_back_len363_dim1_sp_op_CI_CI
	.p2align	8
	.type	bluestein_single_back_len363_dim1_sp_op_CI_CI,@function
bluestein_single_back_len363_dim1_sp_op_CI_CI: ; @bluestein_single_back_len363_dim1_sp_op_CI_CI
; %bb.0:
	s_load_dwordx4 s[16:19], s[0:1], 0x28
	v_mul_u32_u24_e32 v1, 0x7c2, v0
	v_lshrrev_b32_e32 v2, 16, v1
	v_mad_u64_u32 v[64:65], s[2:3], s2, 3, v[2:3]
	v_mov_b32_e32 v41, 0
	v_mov_b32_e32 v65, v41
	s_waitcnt lgkmcnt(0)
	v_cmp_gt_u64_e32 vcc, s[16:17], v[64:65]
	s_and_saveexec_b64 s[2:3], vcc
	s_cbranch_execz .LBB0_10
; %bb.1:
	s_load_dwordx4 s[4:7], s[0:1], 0x18
	s_load_dwordx4 s[8:11], s[0:1], 0x0
	v_mul_lo_u16_e32 v1, 33, v2
	v_sub_u16_e32 v68, v0, v1
	v_mov_b32_e32 v4, s18
	s_waitcnt lgkmcnt(0)
	s_load_dwordx4 s[12:15], s[4:5], 0x0
	v_mov_b32_e32 v5, s19
	v_mov_b32_e32 v22, 0x108
	v_lshlrev_b32_e32 v40, 3, v68
	s_mov_b32 s28, 0xbf68dda4
	s_waitcnt lgkmcnt(0)
	v_mad_u64_u32 v[0:1], s[2:3], s14, v64, 0
	v_mov_b32_e32 v2, v1
	v_mad_u64_u32 v[2:3], s[2:3], s15, v64, v[2:3]
	v_mov_b32_e32 v1, v2
	;; [unrolled: 2-line block ×4, first 2 shown]
	v_lshl_add_u64 v[0:1], v[0:1], 3, v[4:5]
	v_lshl_add_u64 v[0:1], v[2:3], 3, v[0:1]
	global_load_dwordx2 v[2:3], v[0:1], off
	v_mad_u64_u32 v[0:1], s[2:3], s12, v22, v[0:1]
	s_mul_i32 s4, s13, 0x108
	v_add_u32_e32 v1, s4, v1
	global_load_dwordx2 v[4:5], v[0:1], off
	global_load_dwordx2 v[80:81], v40, s[8:9]
	v_mad_u64_u32 v[0:1], s[2:3], s12, v22, v[0:1]
	v_add_u32_e32 v1, s4, v1
	v_mad_u64_u32 v[6:7], s[2:3], s12, v22, v[0:1]
	v_add_u32_e32 v7, s4, v7
	global_load_dwordx2 v[78:79], v40, s[8:9] offset:264
	global_load_dwordx2 v[76:77], v40, s[8:9] offset:528
	;; [unrolled: 1-line block ×3, first 2 shown]
	global_load_dwordx2 v[8:9], v[0:1], off
	v_mad_u64_u32 v[0:1], s[2:3], s12, v22, v[6:7]
	v_add_u32_e32 v1, s4, v1
	global_load_dwordx2 v[10:11], v[6:7], off
	global_load_dwordx2 v[12:13], v[0:1], off
	v_mad_u64_u32 v[0:1], s[2:3], s12, v22, v[0:1]
	v_add_u32_e32 v1, s4, v1
	global_load_dwordx2 v[74:75], v40, s[8:9] offset:1056
	global_load_dwordx2 v[6:7], v[0:1], off
	v_mad_u64_u32 v[0:1], s[2:3], s12, v22, v[0:1]
	v_add_u32_e32 v1, s4, v1
	global_load_dwordx2 v[14:15], v[0:1], off
	v_mad_u64_u32 v[0:1], s[2:3], s12, v22, v[0:1]
	v_add_u32_e32 v1, s4, v1
	global_load_dwordx2 v[72:73], v40, s[8:9] offset:1320
	global_load_dwordx2 v[66:67], v40, s[8:9] offset:1584
	global_load_dwordx2 v[16:17], v[0:1], off
	global_load_dwordx2 v[62:63], v40, s[8:9] offset:1848
	v_mad_u64_u32 v[0:1], s[2:3], s12, v22, v[0:1]
	v_add_u32_e32 v1, s4, v1
	global_load_dwordx2 v[18:19], v[0:1], off
	global_load_dwordx2 v[60:61], v40, s[8:9] offset:2112
	v_mad_u64_u32 v[0:1], s[2:3], s12, v22, v[0:1]
	v_add_u32_e32 v1, s4, v1
	global_load_dwordx2 v[20:21], v[0:1], off
	global_load_dwordx2 v[58:59], v40, s[8:9] offset:2376
	v_mad_u64_u32 v[0:1], s[2:3], s12, v22, v[0:1]
	v_add_u32_e32 v1, s4, v1
	global_load_dwordx2 v[56:57], v40, s[8:9] offset:2640
	global_load_dwordx2 v[22:23], v[0:1], off
	s_mov_b32 s2, 0xaaaaaaab
	v_mul_hi_u32 v0, v64, s2
	v_lshrrev_b32_e32 v0, 1, v0
	v_lshl_add_u32 v0, v0, 1, v0
	v_sub_u32_e32 v0, v64, v0
	v_mul_u32_u24_e32 v0, 0x16b, v0
	v_lshlrev_b32_e32 v69, 3, v0
	v_add_u32_e32 v65, v40, v69
	s_load_dwordx4 s[4:7], s[6:7], 0x0
	s_mov_b32 s2, 0x3ed4b147
	s_mov_b32 s18, 0xbf0a6770
	;; [unrolled: 1-line block ×11, first 2 shown]
	s_load_dwordx2 s[0:1], s[0:1], 0x38
	v_cmp_gt_u16_e32 vcc, 22, v68
	s_waitcnt vmcnt(19)
	v_mul_f32_e32 v0, v3, v81
	v_mul_f32_e32 v1, v2, v81
	v_fmac_f32_e32 v0, v2, v80
	v_fma_f32 v1, v3, v80, -v1
	s_waitcnt vmcnt(18)
	v_mul_f32_e32 v2, v5, v79
	v_mul_f32_e32 v3, v4, v79
	v_fmac_f32_e32 v2, v4, v78
	v_fma_f32 v3, v5, v78, -v3
	ds_write2_b64 v65, v[0:1], v[2:3] offset1:33
	s_waitcnt vmcnt(15)
	v_mul_f32_e32 v0, v9, v77
	v_mul_f32_e32 v1, v8, v77
	s_waitcnt vmcnt(14)
	v_mul_f32_e32 v2, v11, v71
	v_mul_f32_e32 v3, v10, v71
	v_fmac_f32_e32 v0, v8, v76
	v_fma_f32 v1, v9, v76, -v1
	v_fmac_f32_e32 v2, v10, v70
	v_fma_f32 v3, v11, v70, -v3
	ds_write2_b64 v65, v[0:1], v[2:3] offset0:66 offset1:99
	s_waitcnt vmcnt(12)
	v_mul_f32_e32 v0, v13, v75
	v_mul_f32_e32 v1, v12, v75
	v_fmac_f32_e32 v0, v12, v74
	s_waitcnt vmcnt(9)
	v_mul_f32_e32 v2, v7, v73
	v_mul_f32_e32 v3, v6, v73
	v_fma_f32 v1, v13, v74, -v1
	v_fmac_f32_e32 v2, v6, v72
	v_fma_f32 v3, v7, v72, -v3
	ds_write2_b64 v65, v[0:1], v[2:3] offset0:132 offset1:165
	s_waitcnt vmcnt(8)
	v_mul_f32_e32 v0, v15, v67
	v_mul_f32_e32 v1, v14, v67
	s_waitcnt vmcnt(6)
	v_mul_f32_e32 v2, v17, v63
	v_mul_f32_e32 v3, v16, v63
	v_fmac_f32_e32 v0, v14, v66
	v_fma_f32 v1, v15, v66, -v1
	v_fmac_f32_e32 v2, v16, v62
	v_fma_f32 v3, v17, v62, -v3
	ds_write2_b64 v65, v[0:1], v[2:3] offset0:198 offset1:231
	s_waitcnt vmcnt(4)
	v_mul_f32_e32 v0, v19, v61
	v_mul_f32_e32 v1, v18, v61
	s_waitcnt vmcnt(2)
	v_mul_f32_e32 v2, v21, v59
	v_mul_f32_e32 v3, v20, v59
	v_fmac_f32_e32 v0, v18, v60
	v_fma_f32 v1, v19, v60, -v1
	v_fmac_f32_e32 v2, v20, v58
	v_fma_f32 v3, v21, v58, -v3
	v_add_u32_e32 v4, 0x800, v65
	ds_write2_b64 v4, v[0:1], v[2:3] offset0:8 offset1:41
	s_waitcnt vmcnt(0)
	v_mul_f32_e32 v0, v23, v57
	v_mul_f32_e32 v1, v22, v57
	v_fmac_f32_e32 v0, v22, v56
	v_fma_f32 v1, v23, v56, -v1
	ds_write_b64 v65, v[0:1] offset:2640
	s_waitcnt lgkmcnt(0)
	s_barrier
	ds_read2_b64 v[14:17], v65 offset0:66 offset1:99
	ds_read2_b64 v[18:21], v4 offset0:8 offset1:41
	ds_read2_b64 v[0:3], v65 offset1:33
	ds_read2_b64 v[22:25], v65 offset0:132 offset1:165
	ds_read2_b64 v[26:29], v65 offset0:198 offset1:231
	s_waitcnt lgkmcnt(3)
	v_pk_add_f32 v[8:9], v[18:19], v[16:17]
	s_waitcnt lgkmcnt(2)
	v_pk_add_f32 v[10:11], v[0:1], v[2:3]
	v_pk_add_f32 v[12:13], v[16:17], v[18:19] neg_lo:[0,1] neg_hi:[0,1]
	v_pk_add_f32 v[10:11], v[10:11], v[14:15]
	v_pk_add_f32 v[6:7], v[14:15], v[20:21] neg_lo:[0,1] neg_hi:[0,1]
	v_pk_add_f32 v[10:11], v[10:11], v[16:17]
	ds_read_b64 v[16:17], v65 offset:2640
	s_waitcnt lgkmcnt(2)
	v_pk_add_f32 v[10:11], v[10:11], v[22:23]
	v_pk_add_f32 v[4:5], v[20:21], v[14:15]
	;; [unrolled: 1-line block ×3, first 2 shown]
	v_pk_mul_f32 v[14:15], v[6:7], s[28:29] op_sel_hi:[1,0]
	s_waitcnt lgkmcnt(1)
	v_pk_add_f32 v[10:11], v[10:11], v[26:27]
	s_waitcnt lgkmcnt(0)
	v_pk_add_f32 v[34:35], v[2:3], v[16:17] neg_lo:[0,1] neg_hi:[0,1]
	v_pk_add_f32 v[10:11], v[10:11], v[28:29]
	v_pk_add_f32 v[30:31], v[28:29], v[22:23]
	;; [unrolled: 1-line block ×3, first 2 shown]
	v_pk_add_f32 v[32:33], v[22:23], v[28:29] neg_lo:[0,1] neg_hi:[0,1]
	v_pk_add_f32 v[18:19], v[10:11], v[20:21]
	v_pk_fma_f32 v[10:11], v[4:5], s[2:3], v[14:15] op_sel:[0,0,1] op_sel_hi:[1,0,0]
	v_pk_fma_f32 v[20:21], v[4:5], s[2:3], v[14:15] op_sel:[0,0,1] op_sel_hi:[1,0,0] neg_lo:[0,0,1] neg_hi:[0,0,1]
	v_pk_add_f32 v[28:29], v[16:17], v[2:3]
	v_pk_mul_f32 v[14:15], v[34:35], s[18:19] op_sel_hi:[1,0]
	v_pk_add_f32 v[22:23], v[26:27], v[24:25]
	v_pk_add_f32 v[24:25], v[24:25], v[26:27] neg_lo:[0,1] neg_hi:[0,1]
	v_pk_add_f32 v[26:27], v[18:19], v[16:17]
	v_pk_fma_f32 v[2:3], v[28:29], s[12:13], v[14:15] op_sel:[0,0,1] op_sel_hi:[1,0,0]
	v_pk_fma_f32 v[16:17], v[28:29], s[12:13], v[14:15] op_sel:[0,0,1] op_sel_hi:[1,0,0] neg_lo:[0,0,1] neg_hi:[0,0,1]
	v_mov_b32_e32 v15, v21
	v_mov_b32_e32 v21, v11
	;; [unrolled: 1-line block ×4, first 2 shown]
	v_pk_add_f32 v[16:17], v[0:1], v[16:17]
	v_pk_mul_f32 v[38:39], v[32:33], s[26:27] op_sel_hi:[1,0]
	v_pk_add_f32 v[20:21], v[20:21], v[16:17]
	v_pk_mul_f32 v[16:17], v[12:13], s[16:17] op_sel_hi:[1,0]
	v_mul_lo_u16_e32 v3, 11, v68
	v_pk_fma_f32 v[18:19], v[8:9], s[14:15], v[16:17] op_sel:[0,0,1] op_sel_hi:[1,0,0]
	v_pk_fma_f32 v[36:37], v[8:9], s[14:15], v[16:17] op_sel:[0,0,1] op_sel_hi:[1,0,0] neg_lo:[0,0,1] neg_hi:[0,0,1]
	v_lshl_add_u32 v97, v3, 3, v69
	v_mov_b32_e32 v17, v37
	v_mov_b32_e32 v37, v19
	v_pk_add_f32 v[36:37], v[36:37], v[20:21]
	v_pk_fma_f32 v[20:21], v[30:31], s[24:25], v[38:39] op_sel:[0,0,1] op_sel_hi:[1,0,0]
	v_pk_fma_f32 v[38:39], v[30:31], s[24:25], v[38:39] op_sel:[0,0,1] op_sel_hi:[1,0,0] neg_lo:[0,0,1] neg_hi:[0,0,1]
	s_nop 0
	v_mov_b32_e32 v19, v39
	v_mov_b32_e32 v39, v21
	v_pk_add_f32 v[36:37], v[38:39], v[36:37]
	v_pk_mul_f32 v[38:39], v[24:25], s[22:23] op_sel_hi:[1,0]
	s_barrier
	v_pk_fma_f32 v[42:43], v[22:23], s[20:21], v[38:39] op_sel:[0,0,1] op_sel_hi:[1,0,0]
	v_pk_fma_f32 v[38:39], v[22:23], s[20:21], v[38:39] op_sel:[0,0,1] op_sel_hi:[1,0,0] neg_lo:[0,0,1] neg_hi:[0,0,1]
	s_nop 0
	v_mov_b32_e32 v21, v39
	v_mov_b32_e32 v39, v43
	v_pk_add_f32 v[36:37], v[38:39], v[36:37]
	ds_write2_b64 v97, v[26:27], v[36:37] offset1:1
	v_pk_mul_f32 v[26:27], v[6:7], s[26:27] op_sel_hi:[1,0]
	v_pk_mul_f32 v[38:39], v[34:35], s[28:29] op_sel_hi:[1,0]
	v_pk_fma_f32 v[36:37], v[4:5], s[24:25], v[26:27] op_sel:[0,0,1] op_sel_hi:[1,0,0] neg_lo:[0,0,1] neg_hi:[0,0,1]
	v_pk_fma_f32 v[26:27], v[4:5], s[24:25], v[26:27] op_sel:[0,0,1] op_sel_hi:[1,0,0]
	v_pk_fma_f32 v[44:45], v[28:29], s[2:3], v[38:39] op_sel:[0,0,1] op_sel_hi:[1,0,0] neg_lo:[0,0,1] neg_hi:[0,0,1]
	v_pk_fma_f32 v[38:39], v[28:29], s[2:3], v[38:39] op_sel:[0,0,1] op_sel_hi:[1,0,0]
	v_mov_b32_e32 v47, v37
	v_mov_b32_e32 v37, v27
	;; [unrolled: 1-line block ×4, first 2 shown]
	v_pk_add_f32 v[44:45], v[0:1], v[44:45]
	s_mov_b32 s28, 0x3f0a6770
	v_pk_add_f32 v[36:37], v[36:37], v[44:45]
	v_pk_mul_f32 v[44:45], v[12:13], s[30:31] op_sel_hi:[1,0]
	v_pk_mul_f32 v[86:87], v[34:35], s[16:17] op_sel_hi:[1,0]
	v_pk_fma_f32 v[48:49], v[8:9], s[20:21], v[44:45] op_sel:[0,0,1] op_sel_hi:[1,0,0] neg_lo:[0,0,1] neg_hi:[0,0,1]
	v_pk_fma_f32 v[44:45], v[8:9], s[20:21], v[44:45] op_sel:[0,0,1] op_sel_hi:[1,0,0]
	v_mov_b32_e32 v51, v49
	v_mov_b32_e32 v49, v45
	v_pk_add_f32 v[36:37], v[48:49], v[36:37]
	v_pk_mul_f32 v[48:49], v[32:33], s[34:35] op_sel_hi:[1,0]
	v_pk_fma_f32 v[88:89], v[28:29], s[14:15], v[86:87] op_sel:[0,0,1] op_sel_hi:[1,0,0] neg_lo:[0,0,1] neg_hi:[0,0,1]
	v_pk_fma_f32 v[52:53], v[30:31], s[14:15], v[48:49] op_sel:[0,0,1] op_sel_hi:[1,0,0] neg_lo:[0,0,1] neg_hi:[0,0,1]
	v_pk_fma_f32 v[48:49], v[30:31], s[14:15], v[48:49] op_sel:[0,0,1] op_sel_hi:[1,0,0]
	v_mov_b32_e32 v45, v53
	v_mov_b32_e32 v53, v49
	v_pk_add_f32 v[36:37], v[52:53], v[36:37]
	v_pk_mul_f32 v[52:53], v[24:25], s[28:29] op_sel_hi:[1,0]
	v_pk_fma_f32 v[86:87], v[28:29], s[14:15], v[86:87] op_sel:[0,0,1] op_sel_hi:[1,0,0]
	v_pk_fma_f32 v[54:55], v[22:23], s[12:13], v[52:53] op_sel:[0,0,1] op_sel_hi:[1,0,0] neg_lo:[0,0,1] neg_hi:[0,0,1]
	v_pk_fma_f32 v[52:53], v[22:23], s[12:13], v[52:53] op_sel:[0,0,1] op_sel_hi:[1,0,0]
	v_mov_b32_e32 v43, v55
	v_mov_b32_e32 v55, v53
	v_pk_add_f32 v[36:37], v[54:55], v[36:37]
	v_pk_mul_f32 v[54:55], v[6:7], s[30:31] op_sel_hi:[1,0]
	v_mov_b32_e32 v90, v88
	v_pk_fma_f32 v[82:83], v[4:5], s[20:21], v[54:55] op_sel:[0,0,1] op_sel_hi:[1,0,0] neg_lo:[0,0,1] neg_hi:[0,0,1]
	v_pk_fma_f32 v[54:55], v[4:5], s[20:21], v[54:55] op_sel:[0,0,1] op_sel_hi:[1,0,0]
	v_mov_b32_e32 v91, v87
	v_mov_b32_e32 v84, v82
	;; [unrolled: 1-line block ×3, first 2 shown]
	v_pk_add_f32 v[90:91], v[0:1], v[90:91]
	s_mov_b32 s30, 0x3f68dda4
	v_pk_add_f32 v[84:85], v[84:85], v[90:91]
	v_pk_mul_f32 v[90:91], v[12:13], s[30:31] op_sel_hi:[1,0]
	v_pk_mul_f32 v[106:107], v[34:35], s[26:27] op_sel_hi:[1,0]
	v_pk_fma_f32 v[92:93], v[8:9], s[2:3], v[90:91] op_sel:[0,0,1] op_sel_hi:[1,0,0] neg_lo:[0,0,1] neg_hi:[0,0,1]
	v_pk_fma_f32 v[90:91], v[8:9], s[2:3], v[90:91] op_sel:[0,0,1] op_sel_hi:[1,0,0]
	v_mov_b32_e32 v94, v92
	v_mov_b32_e32 v95, v91
	v_pk_add_f32 v[84:85], v[94:95], v[84:85]
	v_pk_mul_f32 v[94:95], v[32:33], s[18:19] op_sel_hi:[1,0]
	v_pk_fma_f32 v[108:109], v[28:29], s[24:25], v[106:107] op_sel:[0,0,1] op_sel_hi:[1,0,0] neg_lo:[0,0,1] neg_hi:[0,0,1]
	v_pk_fma_f32 v[98:99], v[30:31], s[12:13], v[94:95] op_sel:[0,0,1] op_sel_hi:[1,0,0] neg_lo:[0,0,1] neg_hi:[0,0,1]
	v_pk_fma_f32 v[94:95], v[30:31], s[12:13], v[94:95] op_sel:[0,0,1] op_sel_hi:[1,0,0]
	v_mov_b32_e32 v100, v98
	v_mov_b32_e32 v101, v95
	v_pk_add_f32 v[84:85], v[100:101], v[84:85]
	v_pk_mul_f32 v[100:101], v[24:25], s[26:27] op_sel_hi:[1,0]
	v_pk_fma_f32 v[106:107], v[28:29], s[24:25], v[106:107] op_sel:[0,0,1] op_sel_hi:[1,0,0]
	v_pk_fma_f32 v[102:103], v[22:23], s[24:25], v[100:101] op_sel:[0,0,1] op_sel_hi:[1,0,0] neg_lo:[0,0,1] neg_hi:[0,0,1]
	v_pk_fma_f32 v[100:101], v[22:23], s[24:25], v[100:101] op_sel:[0,0,1] op_sel_hi:[1,0,0]
	v_mov_b32_e32 v104, v102
	v_mov_b32_e32 v105, v101
	v_pk_add_f32 v[84:85], v[104:105], v[84:85]
	ds_write2_b64 v97, v[36:37], v[84:85] offset0:2 offset1:3
	v_pk_mul_f32 v[36:37], v[6:7], s[34:35] op_sel_hi:[1,0]
	v_mov_b32_e32 v110, v108
	v_pk_fma_f32 v[84:85], v[4:5], s[14:15], v[36:37] op_sel:[0,0,1] op_sel_hi:[1,0,0] neg_lo:[0,0,1] neg_hi:[0,0,1]
	v_pk_fma_f32 v[36:37], v[4:5], s[14:15], v[36:37] op_sel:[0,0,1] op_sel_hi:[1,0,0]
	v_mov_b32_e32 v111, v107
	v_mov_b32_e32 v104, v84
	;; [unrolled: 1-line block ×3, first 2 shown]
	v_pk_add_f32 v[110:111], v[0:1], v[110:111]
	v_pk_mul_f32 v[6:7], v[6:7], s[28:29] op_sel_hi:[1,0]
	v_pk_add_f32 v[104:105], v[104:105], v[110:111]
	v_pk_mul_f32 v[110:111], v[12:13], s[18:19] op_sel_hi:[1,0]
	v_mov_b32_e32 v107, v109
	v_pk_fma_f32 v[112:113], v[8:9], s[12:13], v[110:111] op_sel:[0,0,1] op_sel_hi:[1,0,0] neg_lo:[0,0,1] neg_hi:[0,0,1]
	v_pk_fma_f32 v[110:111], v[8:9], s[12:13], v[110:111] op_sel:[0,0,1] op_sel_hi:[1,0,0]
	v_mov_b32_e32 v114, v112
	v_mov_b32_e32 v115, v111
	v_pk_add_f32 v[104:105], v[114:115], v[104:105]
	v_pk_mul_f32 v[114:115], v[32:33], s[22:23] op_sel_hi:[1,0]
	v_mov_b32_e32 v37, v85
	v_pk_fma_f32 v[116:117], v[30:31], s[20:21], v[114:115] op_sel:[0,0,1] op_sel_hi:[1,0,0] neg_lo:[0,0,1] neg_hi:[0,0,1]
	v_pk_fma_f32 v[114:115], v[30:31], s[20:21], v[114:115] op_sel:[0,0,1] op_sel_hi:[1,0,0]
	v_mov_b32_e32 v118, v116
	v_mov_b32_e32 v119, v115
	v_pk_add_f32 v[104:105], v[118:119], v[104:105]
	v_pk_mul_f32 v[118:119], v[24:25], s[30:31] op_sel_hi:[1,0]
	v_pk_mul_f32 v[24:25], v[24:25], s[16:17] op_sel_hi:[1,0]
	v_pk_fma_f32 v[120:121], v[22:23], s[2:3], v[118:119] op_sel:[0,0,1] op_sel_hi:[1,0,0] neg_lo:[0,0,1] neg_hi:[0,0,1]
	v_pk_fma_f32 v[118:119], v[22:23], s[2:3], v[118:119] op_sel:[0,0,1] op_sel_hi:[1,0,0]
	v_mov_b32_e32 v122, v120
	v_mov_b32_e32 v123, v119
	v_pk_add_f32 v[104:105], v[122:123], v[104:105]
	v_pk_fma_f32 v[122:123], v[4:5], s[12:13], v[6:7] op_sel:[0,0,1] op_sel_hi:[1,0,0] neg_lo:[0,0,1] neg_hi:[0,0,1]
	v_pk_fma_f32 v[4:5], v[4:5], s[12:13], v[6:7] op_sel:[0,0,1] op_sel_hi:[1,0,0]
	v_pk_mul_f32 v[6:7], v[12:13], s[26:27] op_sel_hi:[1,0]
	v_mov_b32_e32 v111, v113
	v_pk_fma_f32 v[12:13], v[8:9], s[24:25], v[6:7] op_sel:[0,0,1] op_sel_hi:[1,0,0] neg_lo:[0,0,1] neg_hi:[0,0,1]
	v_pk_fma_f32 v[6:7], v[8:9], s[24:25], v[6:7] op_sel:[0,0,1] op_sel_hi:[1,0,0]
	v_pk_mul_f32 v[8:9], v[32:33], s[30:31] op_sel_hi:[1,0]
	v_mov_b32_e32 v115, v117
	v_pk_fma_f32 v[32:33], v[30:31], s[2:3], v[8:9] op_sel:[0,0,1] op_sel_hi:[1,0,0] neg_lo:[0,0,1] neg_hi:[0,0,1]
	v_pk_fma_f32 v[8:9], v[30:31], s[2:3], v[8:9] op_sel:[0,0,1] op_sel_hi:[1,0,0]
	v_pk_fma_f32 v[30:31], v[22:23], s[14:15], v[24:25] op_sel:[0,0,1] op_sel_hi:[1,0,0] neg_lo:[0,0,1] neg_hi:[0,0,1]
	v_pk_fma_f32 v[22:23], v[22:23], s[14:15], v[24:25] op_sel:[0,0,1] op_sel_hi:[1,0,0]
	v_pk_mul_f32 v[24:25], v[34:35], s[22:23] op_sel_hi:[1,0]
	v_mov_b32_e32 v119, v121
	v_pk_fma_f32 v[34:35], v[28:29], s[20:21], v[24:25] op_sel:[0,0,1] op_sel_hi:[1,0,0] neg_lo:[0,0,1] neg_hi:[0,0,1]
	v_pk_fma_f32 v[24:25], v[28:29], s[20:21], v[24:25] op_sel:[0,0,1] op_sel_hi:[1,0,0]
	v_mov_b32_e32 v124, v34
	v_mov_b32_e32 v125, v25
	;; [unrolled: 1-line block ×4, first 2 shown]
	v_pk_add_f32 v[124:125], v[0:1], v[124:125]
	v_mov_b32_e32 v25, v35
	v_pk_add_f32 v[28:29], v[28:29], v[124:125]
	v_mov_b32_e32 v124, v12
	v_mov_b32_e32 v125, v7
	;; [unrolled: 1-line block ×4, first 2 shown]
	v_pk_add_f32 v[12:13], v[0:1], v[24:25]
	v_pk_add_f32 v[28:29], v[124:125], v[28:29]
	;; [unrolled: 1-line block ×3, first 2 shown]
	v_mov_b32_e32 v124, v32
	v_pk_add_f32 v[4:5], v[6:7], v[4:5]
	v_pk_add_f32 v[6:7], v[0:1], v[106:107]
	v_mov_b32_e32 v125, v9
	v_pk_add_f32 v[6:7], v[36:37], v[6:7]
	v_mov_b32_e32 v9, v33
	v_pk_add_f32 v[6:7], v[110:111], v[6:7]
	v_pk_add_f32 v[28:29], v[124:125], v[28:29]
	v_mov_b32_e32 v125, v23
	v_mov_b32_e32 v23, v31
	v_pk_add_f32 v[4:5], v[8:9], v[4:5]
	v_pk_add_f32 v[6:7], v[114:115], v[6:7]
	;; [unrolled: 1-line block ×4, first 2 shown]
	v_mov_b32_e32 v46, v26
	v_mov_b32_e32 v14, v10
	;; [unrolled: 1-line block ×5, first 2 shown]
	ds_write2_b64 v97, v[4:5], v[6:7] offset0:6 offset1:7
	v_pk_add_f32 v[4:5], v[0:1], v[26:27]
	v_pk_add_f32 v[2:3], v[0:1], v[10:11]
	v_mov_b32_e32 v55, v83
	v_pk_add_f32 v[0:1], v[0:1], v[86:87]
	v_mov_b32_e32 v50, v44
	;; [unrolled: 2-line block ×4, first 2 shown]
	v_mov_b32_e32 v16, v18
	v_pk_add_f32 v[4:5], v[50:51], v[4:5]
	v_pk_add_f32 v[2:3], v[14:15], v[2:3]
	v_mov_b32_e32 v95, v99
	v_pk_add_f32 v[0:1], v[90:91], v[0:1]
	v_mov_b32_e32 v124, v30
	v_mov_b32_e32 v18, v20
	;; [unrolled: 1-line block ×4, first 2 shown]
	v_pk_add_f32 v[4:5], v[44:45], v[4:5]
	v_pk_add_f32 v[2:3], v[16:17], v[2:3]
	v_mov_b32_e32 v101, v103
	v_pk_add_f32 v[0:1], v[94:95], v[0:1]
	v_pk_add_f32 v[28:29], v[124:125], v[28:29]
	;; [unrolled: 1-line block ×5, first 2 shown]
	ds_write2_b64 v97, v[104:105], v[28:29] offset0:4 offset1:5
	v_pk_add_f32 v[34:35], v[20:21], v[2:3]
	ds_write2_b64 v97, v[0:1], v[32:33] offset0:8 offset1:9
	ds_write_b64 v97, v[34:35] offset:80
	v_add_u32_e32 v0, 0x400, v65
	s_waitcnt lgkmcnt(0)
	s_barrier
	ds_read2_b64 v[24:27], v65 offset1:33
	ds_read2_b64 v[16:19], v65 offset0:66 offset1:121
	ds_read2_b64 v[28:31], v0 offset0:114 offset1:147
	;; [unrolled: 1-line block ×3, first 2 shown]
	ds_read_b64 v[36:37], v65 offset:2464
                                        ; implicit-def: $vgpr38
                                        ; implicit-def: $vgpr44
	s_and_saveexec_b64 s[2:3], vcc
	s_cbranch_execz .LBB0_3
; %bb.2:
	ds_read2_b64 v[32:35], v65 offset0:99 offset1:220
	ds_read_b64 v[38:39], v65 offset:2728
	s_waitcnt lgkmcnt(0)
	v_mov_b32_e32 v44, v39
.LBB0_3:
	s_or_b64 exec, exec, s[2:3]
	s_movk_i32 s2, 0x75
	v_mul_lo_u16_sdwa v0, v68, s2 dst_sel:DWORD dst_unused:UNUSED_PAD src0_sel:BYTE_0 src1_sel:DWORD
	v_sub_u16_sdwa v1, v68, v0 dst_sel:DWORD dst_unused:UNUSED_PAD src0_sel:DWORD src1_sel:BYTE_1
	v_lshrrev_b16_e32 v1, 1, v1
	v_and_b32_e32 v1, 0x7f, v1
	v_add_u16_sdwa v0, v1, v0 dst_sel:DWORD dst_unused:UNUSED_PAD src0_sel:DWORD src1_sel:BYTE_1
	v_lshrrev_b16_e32 v39, 3, v0
	v_mul_lo_u16_e32 v0, 11, v39
	v_sub_u16_e32 v45, v68, v0
	v_lshlrev_b16_e32 v0, 1, v45
	v_add_u16_e32 v9, 33, v68
	v_and_b32_e32 v0, 0xfe, v0
	v_mul_lo_u16_sdwa v10, v9, s2 dst_sel:DWORD dst_unused:UNUSED_PAD src0_sel:BYTE_0 src1_sel:DWORD
	v_lshlrev_b32_e32 v8, 3, v0
	v_sub_u16_sdwa v0, v9, v10 dst_sel:DWORD dst_unused:UNUSED_PAD src0_sel:DWORD src1_sel:BYTE_1
	v_lshrrev_b16_e32 v11, 1, v0
	v_add_u16_e32 v0, 0x42, v68
	v_mul_lo_u16_sdwa v1, v0, s2 dst_sel:DWORD dst_unused:UNUSED_PAD src0_sel:BYTE_0 src1_sel:DWORD
	v_sub_u16_sdwa v2, v0, v1 dst_sel:DWORD dst_unused:UNUSED_PAD src0_sel:DWORD src1_sel:BYTE_1
	v_lshrrev_b16_e32 v2, 1, v2
	v_and_b32_e32 v2, 0x7f, v2
	v_add_u16_sdwa v1, v2, v1 dst_sel:DWORD dst_unused:UNUSED_PAD src0_sel:DWORD src1_sel:BYTE_1
	v_lshrrev_b16_e32 v54, 3, v1
	v_mul_lo_u16_e32 v1, 11, v54
	v_sub_u16_e32 v55, v0, v1
	v_add_u16_e32 v1, 0x63, v68
	v_mul_lo_u16_sdwa v2, v1, s2 dst_sel:DWORD dst_unused:UNUSED_PAD src0_sel:BYTE_0 src1_sel:DWORD
	v_sub_u16_sdwa v3, v1, v2 dst_sel:DWORD dst_unused:UNUSED_PAD src0_sel:DWORD src1_sel:BYTE_1
	v_lshrrev_b16_e32 v3, 1, v3
	v_and_b32_e32 v3, 0x7f, v3
	v_add_u16_sdwa v2, v3, v2 dst_sel:DWORD dst_unused:UNUSED_PAD src0_sel:DWORD src1_sel:BYTE_1
	v_lshrrev_b16_e32 v118, 3, v2
	v_mov_b32_e32 v42, 4
	v_mul_lo_u16_e32 v2, 11, v118
	v_lshlrev_b32_sdwa v0, v42, v55 dst_sel:DWORD dst_unused:UNUSED_PAD src0_sel:DWORD src1_sel:BYTE_0
	v_sub_u16_e32 v119, v1, v2
	global_load_dwordx4 v[4:7], v0, s[10:11]
	global_load_dwordx4 v[12:15], v8, s[10:11]
	v_lshlrev_b32_sdwa v0, v42, v119 dst_sel:DWORD dst_unused:UNUSED_PAD src0_sel:DWORD src1_sel:BYTE_0
	global_load_dwordx4 v[0:3], v0, s[10:11]
	v_and_b32_e32 v11, 0x7f, v11
	v_add_u16_sdwa v10, v11, v10 dst_sel:DWORD dst_unused:UNUSED_PAD src0_sel:DWORD src1_sel:BYTE_1
	v_lshrrev_b16_e32 v46, 3, v10
	v_mul_lo_u16_e32 v10, 11, v46
	v_sub_u16_e32 v47, v9, v10
	v_lshlrev_b32_sdwa v8, v42, v47 dst_sel:DWORD dst_unused:UNUSED_PAD src0_sel:DWORD src1_sel:BYTE_0
	global_load_dwordx4 v[8:11], v8, s[10:11]
	v_lshl_add_u64 v[42:43], s[8:9], 0, v[40:41]
	v_mul_u32_u24_e32 v41, 33, v46
	v_mad_legacy_u16 v39, v39, 33, v45
	v_add_u32_sdwa v41, v41, v47 dst_sel:DWORD dst_unused:UNUSED_PAD src0_sel:DWORD src1_sel:BYTE_0
	v_and_b32_e32 v39, 0xff, v39
	v_lshl_add_u32 v121, v39, 3, v69
	s_mov_b32 s2, 0x3f5db3d7
	s_waitcnt lgkmcnt(0)
	s_barrier
	v_lshl_add_u32 v120, v41, 3, v69
	s_waitcnt vmcnt(3)
	v_mov_b32_e32 v84, v7
	s_waitcnt vmcnt(2)
	v_mov_b32_e32 v88, v15
	v_mul_u32_u24_e32 v7, 33, v54
	s_waitcnt vmcnt(1)
	v_pk_mul_f32 v[46:47], v[34:35], v[0:1] op_sel:[1,0]
	v_pk_mul_f32 v[44:45], v[44:45], v[2:3] op_sel_hi:[0,1]
	v_pk_fma_f32 v[48:49], v[34:35], v[0:1], v[46:47] op_sel:[0,0,1] op_sel_hi:[0,1,0]
	v_pk_fma_f32 v[34:35], v[34:35], v[0:1], v[46:47] op_sel:[0,0,1] op_sel_hi:[0,1,0] neg_lo:[0,0,1] neg_hi:[0,0,1]
	v_pk_fma_f32 v[46:47], v[38:39], v[2:3], v[44:45] op_sel:[0,0,1] op_sel_hi:[0,1,0]
	v_pk_fma_f32 v[38:39], v[38:39], v[2:3], v[44:45] op_sel:[0,0,1] op_sel_hi:[0,1,0] neg_lo:[0,0,1] neg_hi:[0,0,1]
	v_pk_mul_f32 v[44:45], v[18:19], v[12:13] op_sel:[0,1]
	v_mov_b32_e32 v35, v49
	v_mov_b32_e32 v39, v47
	v_pk_fma_f32 v[50:51], v[18:19], v[12:13], v[44:45] op_sel:[0,0,1] op_sel_hi:[1,1,0] neg_lo:[0,0,1] neg_hi:[0,0,1]
	v_pk_fma_f32 v[18:19], v[18:19], v[12:13], v[44:45] op_sel:[0,0,1] op_sel_hi:[1,0,0]
	v_pk_mul_f32 v[44:45], v[28:29], v[88:89] op_sel_hi:[1,0]
	v_pk_add_f32 v[46:47], v[34:35], v[38:39]
	v_pk_add_f32 v[48:49], v[34:35], v[38:39] neg_lo:[0,1] neg_hi:[0,1]
	v_pk_fma_f32 v[52:53], v[28:29], v[14:15], v[44:45] op_sel:[0,0,1] op_sel_hi:[1,1,0] neg_lo:[0,0,1] neg_hi:[0,0,1]
	v_pk_fma_f32 v[44:45], v[28:29], v[14:15], v[44:45] op_sel:[0,0,1] op_sel_hi:[1,0,0]
	v_pk_fma_f32 v[46:47], v[46:47], 0.5, v[32:33] op_sel_hi:[1,0,1] neg_lo:[1,0,0] neg_hi:[1,0,0]
	v_pk_mul_f32 v[48:49], v[48:49], s[2:3] op_sel_hi:[1,0]
	v_mov_b32_e32 v51, v19
	v_mov_b32_e32 v53, v45
	v_pk_add_f32 v[18:19], v[46:47], v[48:49] op_sel:[0,1] op_sel_hi:[1,0]
	v_pk_add_f32 v[28:29], v[46:47], v[48:49] op_sel:[0,1] op_sel_hi:[1,0] neg_lo:[0,1] neg_hi:[0,1]
	v_pk_add_f32 v[46:47], v[50:51], v[52:53]
	v_pk_add_f32 v[48:49], v[50:51], v[52:53] neg_lo:[0,1] neg_hi:[0,1]
	v_pk_add_f32 v[44:45], v[24:25], v[50:51]
	v_pk_fma_f32 v[24:25], v[46:47], 0.5, v[24:25] op_sel_hi:[1,0,1] neg_lo:[1,0,0] neg_hi:[1,0,0]
	v_pk_mul_f32 v[46:47], v[48:49], s[2:3] op_sel_hi:[1,0]
	v_pk_add_f32 v[44:45], v[44:45], v[52:53]
	v_pk_add_f32 v[48:49], v[24:25], v[46:47] op_sel:[0,1] op_sel_hi:[1,0]
	v_pk_add_f32 v[24:25], v[24:25], v[46:47] op_sel:[0,1] op_sel_hi:[1,0] neg_lo:[0,1] neg_hi:[0,1]
	v_mov_b32_e32 v46, v48
	v_mov_b32_e32 v47, v25
	;; [unrolled: 1-line block ×3, first 2 shown]
	ds_write2_b64 v121, v[44:45], v[46:47] offset1:11
	ds_write_b64 v121, v[24:25] offset:176
	s_waitcnt vmcnt(0)
	v_pk_mul_f32 v[24:25], v[20:21], v[8:9] op_sel:[0,1]
	v_mov_b32_e32 v90, v11
	v_pk_fma_f32 v[44:45], v[20:21], v[8:9], v[24:25] op_sel:[0,0,1] op_sel_hi:[1,1,0] neg_lo:[0,0,1] neg_hi:[0,0,1]
	v_pk_fma_f32 v[20:21], v[20:21], v[8:9], v[24:25] op_sel:[0,0,1] op_sel_hi:[1,0,0]
	v_add_u32_sdwa v7, v7, v55 dst_sel:DWORD dst_unused:UNUSED_PAD src0_sel:DWORD src1_sel:BYTE_0
	v_mov_b32_e32 v45, v21
	v_pk_mul_f32 v[20:21], v[30:31], v[90:91] op_sel_hi:[1,0]
	v_mov_b32_e32 v86, v5
	v_pk_fma_f32 v[24:25], v[30:31], v[10:11], v[20:21] op_sel:[0,0,1] op_sel_hi:[1,1,0] neg_lo:[0,0,1] neg_hi:[0,0,1]
	v_pk_fma_f32 v[20:21], v[30:31], v[10:11], v[20:21] op_sel:[0,0,1] op_sel_hi:[1,0,0]
	v_mov_b32_e32 v94, v13
	v_mov_b32_e32 v25, v21
	v_pk_add_f32 v[20:21], v[26:27], v[44:45]
	v_pk_add_f32 v[30:31], v[44:45], v[24:25]
	;; [unrolled: 1-line block ×3, first 2 shown]
	v_pk_add_f32 v[24:25], v[44:45], v[24:25] neg_lo:[0,1] neg_hi:[0,1]
	v_pk_fma_f32 v[26:27], v[30:31], 0.5, v[26:27] op_sel_hi:[1,0,1] neg_lo:[1,0,0] neg_hi:[1,0,0]
	v_pk_mul_f32 v[24:25], v[24:25], s[2:3] op_sel_hi:[1,0]
	v_mov_b32_e32 v92, v9
	v_pk_add_f32 v[30:31], v[26:27], v[24:25] op_sel:[0,1] op_sel_hi:[1,0]
	v_pk_add_f32 v[24:25], v[26:27], v[24:25] op_sel:[0,1] op_sel_hi:[1,0] neg_lo:[0,1] neg_hi:[0,1]
	v_mov_b32_e32 v26, v30
	v_mov_b32_e32 v27, v25
	ds_write2_b64 v120, v[20:21], v[26:27] offset1:11
	v_mov_b32_e32 v25, v31
	v_pk_mul_f32 v[20:21], v[22:23], v[4:5] op_sel:[0,1]
	ds_write_b64 v120, v[24:25] offset:176
	v_pk_fma_f32 v[24:25], v[22:23], v[4:5], v[20:21] op_sel:[0,0,1] op_sel_hi:[1,1,0] neg_lo:[0,0,1] neg_hi:[0,0,1]
	v_pk_fma_f32 v[20:21], v[22:23], v[4:5], v[20:21] op_sel:[0,0,1] op_sel_hi:[1,0,0]
	v_mov_b32_e32 v82, v28
	v_mov_b32_e32 v25, v21
	v_pk_mul_f32 v[20:21], v[36:37], v[84:85] op_sel_hi:[1,0]
	v_mov_b32_e32 v83, v19
	v_pk_fma_f32 v[22:23], v[36:37], v[6:7], v[20:21] op_sel:[0,0,1] op_sel_hi:[1,1,0] neg_lo:[0,0,1] neg_hi:[0,0,1]
	v_pk_fma_f32 v[20:21], v[36:37], v[6:7], v[20:21] op_sel:[0,0,1] op_sel_hi:[1,0,0]
	v_lshl_add_u32 v122, v7, 3, v69
	v_mov_b32_e32 v23, v21
	v_pk_add_f32 v[20:21], v[16:17], v[24:25]
	v_pk_add_f32 v[26:27], v[24:25], v[22:23]
	;; [unrolled: 1-line block ×3, first 2 shown]
	v_pk_add_f32 v[22:23], v[24:25], v[22:23] neg_lo:[0,1] neg_hi:[0,1]
	v_pk_fma_f32 v[16:17], v[26:27], 0.5, v[16:17] op_sel_hi:[1,0,1] neg_lo:[1,0,0] neg_hi:[1,0,0]
	v_pk_mul_f32 v[22:23], v[22:23], s[2:3] op_sel_hi:[1,0]
	s_nop 0
	v_pk_add_f32 v[24:25], v[16:17], v[22:23] op_sel:[0,1] op_sel_hi:[1,0]
	v_pk_add_f32 v[16:17], v[16:17], v[22:23] op_sel:[0,1] op_sel_hi:[1,0] neg_lo:[0,1] neg_hi:[0,1]
	v_mov_b32_e32 v22, v24
	v_mov_b32_e32 v23, v17
	;; [unrolled: 1-line block ×3, first 2 shown]
	ds_write2_b64 v122, v[20:21], v[22:23] offset1:11
	ds_write_b64 v122, v[16:17] offset:176
	s_and_saveexec_b64 s[2:3], vcc
	s_cbranch_execz .LBB0_5
; %bb.4:
	v_mul_u32_u24_e32 v5, 33, v118
	v_add_u32_sdwa v5, v5, v119 dst_sel:DWORD dst_unused:UNUSED_PAD src0_sel:DWORD src1_sel:BYTE_0
	v_pk_add_f32 v[16:17], v[32:33], v[34:35]
	v_lshl_add_u32 v5, v5, 3, v69
	v_pk_add_f32 v[16:17], v[16:17], v[38:39]
	v_mov_b32_e32 v19, v29
	ds_write2_b64 v5, v[16:17], v[18:19] offset1:11
	ds_write_b64 v5, v[82:83] offset:176
.LBB0_5:
	s_or_b64 exec, exec, s[2:3]
	s_movk_i32 s2, 0x50
	v_mov_b64_e32 v[16:17], s[10:11]
	v_mad_u64_u32 v[36:37], s[2:3], v68, s2, v[16:17]
	s_waitcnt lgkmcnt(0)
	s_barrier
	global_load_dwordx4 v[16:19], v[36:37], off offset:224
	global_load_dwordx4 v[24:27], v[36:37], off offset:208
	;; [unrolled: 1-line block ×5, first 2 shown]
	v_add_u32_e32 v5, 0x800, v65
	ds_read2_b64 v[44:47], v65 offset0:66 offset1:99
	ds_read2_b64 v[36:39], v65 offset1:33
	ds_read2_b64 v[48:51], v65 offset0:132 offset1:165
	ds_read2_b64 v[52:55], v65 offset0:198 offset1:231
	;; [unrolled: 1-line block ×3, first 2 shown]
	ds_read_b64 v[110:111], v65 offset:2640
	s_mov_b32 s2, 0xbf0a6770
	s_mov_b32 s3, 0x3f575c64
	;; [unrolled: 1-line block ×36, first 2 shown]
	s_add_u32 s8, s8, 0xb58
	s_addc_u32 s9, s9, 0
	v_mov_b32_e32 v13, v12
	v_mov_b32_e32 v95, v94
	;; [unrolled: 1-line block ×10, first 2 shown]
	s_waitcnt vmcnt(4)
	v_mov_b32_e32 v98, v19
	s_waitcnt vmcnt(3)
	v_mov_b32_e32 v100, v27
	;; [unrolled: 2-line block ×4, first 2 shown]
	v_mov_b32_e32 v112, v21
	s_waitcnt lgkmcnt(4)
	v_pk_mul_f32 v[114:115], v[38:39], v[20:21] op_sel:[1,0] op_sel_hi:[0,1]
	s_waitcnt vmcnt(0)
	v_mov_b32_e32 v96, v31
	v_pk_mul_f32 v[116:117], v[46:47], v[32:33] op_sel:[0,1]
	s_waitcnt lgkmcnt(3)
	v_pk_mul_f32 v[124:125], v[50:51], v[24:25] op_sel:[0,1]
	s_waitcnt lgkmcnt(2)
	;; [unrolled: 2-line block ×3, first 2 shown]
	v_pk_mul_f32 v[128:129], v[108:109], v[28:29] op_sel:[0,1]
	v_pk_mul_f32 v[112:113], v[38:39], v[112:113] op_sel:[1,0] op_sel_hi:[0,1]
	v_mov_b32_e32 v114, v115
	v_pk_mul_f32 v[130:131], v[44:45], v[104:105] op_sel_hi:[1,0]
	v_pk_fma_f32 v[132:133], v[46:47], v[32:33], v[116:117] op_sel:[0,0,1] op_sel_hi:[1,1,0] neg_lo:[0,0,1] neg_hi:[0,0,1]
	v_pk_fma_f32 v[46:47], v[46:47], v[32:33], v[116:117] op_sel:[0,0,1] op_sel_hi:[1,0,0]
	v_pk_mul_f32 v[116:117], v[48:49], v[102:103] op_sel_hi:[1,0]
	v_pk_fma_f32 v[134:135], v[50:51], v[24:25], v[124:125] op_sel:[0,0,1] op_sel_hi:[1,1,0] neg_lo:[0,0,1] neg_hi:[0,0,1]
	v_pk_fma_f32 v[50:51], v[50:51], v[24:25], v[124:125] op_sel:[0,0,1] op_sel_hi:[1,0,0]
	;; [unrolled: 3-line block ×4, first 2 shown]
	s_waitcnt lgkmcnt(0)
	v_pk_mul_f32 v[128:129], v[110:111], v[96:97] op_sel_hi:[1,0]
	v_pk_fma_f32 v[112:113], v[38:39], v[20:21], v[112:113] neg_lo:[0,0,1] neg_hi:[0,0,1]
	v_pk_fma_f32 v[114:115], v[38:39], v[20:21], v[114:115] op_sel:[1,0,0] op_sel_hi:[0,1,1]
	v_pk_fma_f32 v[140:141], v[44:45], v[22:23], v[130:131] op_sel:[0,0,1] op_sel_hi:[1,1,0] neg_lo:[0,0,1] neg_hi:[0,0,1]
	v_pk_fma_f32 v[38:39], v[44:45], v[22:23], v[130:131] op_sel:[0,0,1] op_sel_hi:[1,0,0]
	v_mov_b32_e32 v133, v47
	v_pk_fma_f32 v[44:45], v[48:49], v[34:35], v[116:117] op_sel:[0,0,1] op_sel_hi:[1,1,0] neg_lo:[0,0,1] neg_hi:[0,0,1]
	v_pk_fma_f32 v[46:47], v[48:49], v[34:35], v[116:117] op_sel:[0,0,1] op_sel_hi:[1,0,0]
	v_mov_b32_e32 v135, v51
	;; [unrolled: 3-line block ×3, first 2 shown]
	v_pk_fma_f32 v[52:53], v[106:107], v[18:19], v[126:127] op_sel:[0,0,1] op_sel_hi:[1,1,0] neg_lo:[0,0,1] neg_hi:[0,0,1]
	v_pk_fma_f32 v[54:55], v[106:107], v[18:19], v[126:127] op_sel:[0,0,1] op_sel_hi:[1,0,0]
	v_pk_fma_f32 v[106:107], v[110:111], v[30:31], v[128:129] op_sel:[0,0,1] op_sel_hi:[1,0,0] neg_lo:[0,0,1] neg_hi:[0,0,1]
	v_mov_b32_e32 v141, v39
	v_mov_b32_e32 v38, v112
	;; [unrolled: 1-line block ×5, first 2 shown]
	v_pk_add_f32 v[124:125], v[112:113], v[106:107]
	v_pk_add_f32 v[50:51], v[112:113], v[106:107] neg_lo:[0,1] neg_hi:[0,1]
	v_pk_add_f32 v[106:107], v[36:37], v[38:39]
	v_mov_b32_e32 v45, v47
	v_pk_add_f32 v[106:107], v[106:107], v[140:141]
	v_pk_add_f32 v[142:143], v[44:45], v[136:137]
	;; [unrolled: 1-line block ×3, first 2 shown]
	v_pk_add_f32 v[112:113], v[44:45], v[136:137] neg_lo:[0,1] neg_hi:[0,1]
	v_pk_add_f32 v[44:45], v[106:107], v[44:45]
	v_mov_b32_e32 v139, v109
	v_pk_add_f32 v[44:45], v[44:45], v[134:135]
	v_pk_fma_f32 v[108:109], v[110:111], v[30:31], v[128:129] op_sel:[0,0,1] op_sel_hi:[1,0,0]
	v_pk_add_f32 v[44:45], v[44:45], v[48:49]
	v_mov_b32_e32 v53, v55
	v_pk_add_f32 v[44:45], v[44:45], v[136:137]
	v_mov_b32_e32 v7, v114
	v_mov_b32_e32 v54, v109
	v_pk_add_f32 v[44:45], v[44:45], v[52:53]
	v_mov_b32_e32 v47, v109
	v_pk_add_f32 v[38:39], v[6:7], v[108:109]
	v_pk_add_f32 v[126:127], v[114:115], v[54:55] neg_lo:[0,1] neg_hi:[0,1]
	v_pk_add_f32 v[44:45], v[44:45], v[138:139]
	v_mov_b32_e32 v125, v50
	v_pk_add_f32 v[130:131], v[132:133], v[52:53]
	v_pk_add_f32 v[108:109], v[132:133], v[52:53] neg_lo:[0,1] neg_hi:[0,1]
	v_mov_b32_e32 v38, v126
	v_pk_add_f32 v[132:133], v[44:45], v[46:47]
	v_pk_mul_f32 v[46:47], v[124:125], s[38:39]
	v_pk_add_f32 v[144:145], v[134:135], v[48:49]
	v_pk_add_f32 v[146:147], v[134:135], v[48:49] neg_lo:[0,1] neg_hi:[0,1]
	v_pk_fma_f32 v[48:49], v[126:127], s[2:3], v[46:47] neg_lo:[1,0,0] neg_hi:[1,0,0]
	v_pk_fma_f32 v[44:45], v[38:39], s[2:3], v[46:47]
	v_pk_add_f32 v[128:129], v[140:141], v[138:139]
	v_pk_add_f32 v[54:55], v[140:141], v[138:139] neg_lo:[0,1] neg_hi:[0,1]
	v_mov_b32_e32 v49, v45
	v_pk_add_f32 v[106:107], v[36:37], v[48:49]
	v_mov_b32_e32 v49, v129
	v_mov_b32_e32 v129, v54
	;; [unrolled: 1-line block ×3, first 2 shown]
	v_pk_mul_f32 v[52:53], v[128:129], s[20:21]
	v_pk_mul_f32 v[168:169], v[128:129], s[30:31]
	v_pk_fma_f32 v[54:55], v[48:49], s[16:17], v[52:53] neg_lo:[1,0,0] neg_hi:[1,0,0]
	v_pk_fma_f32 v[50:51], v[48:49], s[16:17], v[52:53]
	v_pk_fma_f32 v[170:171], v[48:49], s[28:29], v[168:169] neg_lo:[1,0,0] neg_hi:[1,0,0]
	v_mov_b32_e32 v55, v51
	v_pk_add_f32 v[110:111], v[54:55], v[106:107]
	v_mov_b32_e32 v55, v131
	v_mov_b32_e32 v131, v108
	;; [unrolled: 1-line block ×3, first 2 shown]
	v_pk_mul_f32 v[108:109], v[130:131], s[42:43]
	v_pk_fma_f32 v[172:173], v[48:49], s[28:29], v[168:169]
	v_pk_fma_f32 v[114:115], v[54:55], s[10:11], v[108:109] neg_lo:[1,0,0] neg_hi:[1,0,0]
	v_pk_fma_f32 v[106:107], v[54:55], s[10:11], v[108:109]
	v_mov_b32_e32 v171, v173
	v_mov_b32_e32 v115, v107
	v_pk_add_f32 v[116:117], v[114:115], v[110:111]
	v_mov_b32_e32 v111, v143
	v_mov_b32_e32 v143, v112
	;; [unrolled: 1-line block ×3, first 2 shown]
	v_pk_mul_f32 v[114:115], v[142:143], s[24:25]
	v_pk_mul_f32 v[186:187], v[128:129], s[34:35]
	v_pk_fma_f32 v[134:135], v[110:111], s[12:13], v[114:115] neg_lo:[1,0,0] neg_hi:[1,0,0]
	v_pk_fma_f32 v[112:113], v[110:111], s[12:13], v[114:115]
	v_pk_fma_f32 v[188:189], v[48:49], s[26:27], v[186:187] neg_lo:[1,0,0] neg_hi:[1,0,0]
	v_mov_b32_e32 v135, v113
	v_pk_add_f32 v[134:135], v[134:135], v[116:117]
	v_mov_b32_e32 v117, v145
	v_mov_b32_e32 v145, v146
	;; [unrolled: 1-line block ×3, first 2 shown]
	v_pk_mul_f32 v[136:137], v[144:145], s[40:41]
	v_pk_mul_f32 v[146:147], v[128:129], s[24:25]
	v_pk_fma_f32 v[138:139], v[116:117], s[14:15], v[136:137] neg_lo:[1,0,0] neg_hi:[1,0,0]
	v_pk_fma_f32 v[140:141], v[116:117], s[14:15], v[136:137]
	v_pk_fma_f32 v[148:149], v[48:49], s[12:13], v[146:147] neg_lo:[1,0,0] neg_hi:[1,0,0]
	v_mov_b32_e32 v139, v141
	v_pk_add_f32 v[134:135], v[138:139], v[134:135]
	ds_write2_b64 v65, v[132:133], v[134:135] offset1:33
	v_pk_mul_f32 v[132:133], v[124:125], s[20:21]
	v_pk_fma_f32 v[150:151], v[48:49], s[12:13], v[146:147]
	v_pk_fma_f32 v[134:135], v[126:127], s[16:17], v[132:133] neg_lo:[1,0,0] neg_hi:[1,0,0]
	v_pk_fma_f32 v[138:139], v[38:39], s[16:17], v[132:133]
	v_mov_b32_e32 v149, v151
	v_mov_b32_e32 v135, v139
	v_pk_add_f32 v[134:135], v[36:37], v[134:135]
	v_pk_fma_f32 v[190:191], v[48:49], s[26:27], v[186:187]
	v_pk_add_f32 v[134:135], v[148:149], v[134:135]
	v_pk_mul_f32 v[148:149], v[130:131], s[30:31]
	v_mov_b32_e32 v189, v191
	v_pk_fma_f32 v[152:153], v[54:55], s[28:29], v[148:149] neg_lo:[1,0,0] neg_hi:[1,0,0]
	v_pk_fma_f32 v[154:155], v[54:55], s[28:29], v[148:149]
	v_pk_mul_f32 v[128:129], v[128:129], s[36:37]
	v_mov_b32_e32 v153, v155
	v_pk_add_f32 v[134:135], v[152:153], v[134:135]
	v_pk_mul_f32 v[152:153], v[142:143], s[34:35]
	v_pk_fma_f32 v[204:205], v[48:49], s[18:19], v[128:129] neg_lo:[1,0,0] neg_hi:[1,0,0]
	v_pk_fma_f32 v[156:157], v[110:111], s[26:27], v[152:153] neg_lo:[1,0,0] neg_hi:[1,0,0]
	v_pk_fma_f32 v[158:159], v[110:111], s[26:27], v[152:153]
	v_pk_fma_f32 v[206:207], v[48:49], s[18:19], v[128:129]
	v_mov_b32_e32 v157, v159
	v_pk_add_f32 v[134:135], v[156:157], v[134:135]
	v_pk_mul_f32 v[156:157], v[144:145], s[36:37]
	v_mov_b32_e32 v205, v207
	v_pk_fma_f32 v[160:161], v[116:117], s[18:19], v[156:157] neg_lo:[1,0,0] neg_hi:[1,0,0]
	v_pk_fma_f32 v[162:163], v[116:117], s[18:19], v[156:157]
	v_add_u32_e32 v19, 0x400, v65
	v_mov_b32_e32 v161, v163
	v_pk_add_f32 v[134:135], v[160:161], v[134:135]
	v_pk_mul_f32 v[160:161], v[124:125], s[42:43]
	s_nop 0
	v_pk_fma_f32 v[164:165], v[126:127], s[10:11], v[160:161] neg_lo:[1,0,0] neg_hi:[1,0,0]
	v_pk_fma_f32 v[166:167], v[38:39], s[10:11], v[160:161]
	s_nop 0
	v_mov_b32_e32 v165, v167
	v_pk_add_f32 v[164:165], v[36:37], v[164:165]
	s_nop 0
	v_pk_add_f32 v[164:165], v[170:171], v[164:165]
	v_pk_mul_f32 v[170:171], v[130:131], s[44:45]
	s_nop 0
	v_pk_fma_f32 v[174:175], v[54:55], s[22:23], v[170:171] neg_lo:[1,0,0] neg_hi:[1,0,0]
	v_pk_fma_f32 v[176:177], v[54:55], s[22:23], v[170:171]
	s_nop 0
	v_mov_b32_e32 v175, v177
	v_pk_add_f32 v[164:165], v[174:175], v[164:165]
	v_pk_mul_f32 v[174:175], v[142:143], s[38:39]
	s_nop 0
	v_pk_fma_f32 v[178:179], v[110:111], s[2:3], v[174:175] neg_lo:[1,0,0] neg_hi:[1,0,0]
	v_pk_fma_f32 v[180:181], v[110:111], s[2:3], v[174:175]
	s_nop 0
	v_mov_b32_e32 v179, v181
	;; [unrolled: 7-line block ×3, first 2 shown]
	v_pk_add_f32 v[164:165], v[182:183], v[164:165]
	ds_write2_b64 v65, v[134:135], v[164:165] offset0:66 offset1:99
	v_pk_mul_f32 v[134:135], v[124:125], s[24:25]
	v_pk_mul_f32 v[124:125], v[124:125], s[40:41]
	v_pk_fma_f32 v[164:165], v[126:127], s[12:13], v[134:135] neg_lo:[1,0,0] neg_hi:[1,0,0]
	v_pk_fma_f32 v[182:183], v[38:39], s[12:13], v[134:135]
	v_pk_fma_f32 v[126:127], v[126:127], s[14:15], v[124:125] neg_lo:[1,0,0] neg_hi:[1,0,0]
	v_mov_b32_e32 v165, v183
	v_pk_add_f32 v[164:165], v[36:37], v[164:165]
	s_nop 0
	v_pk_add_f32 v[164:165], v[188:189], v[164:165]
	v_pk_mul_f32 v[188:189], v[130:131], s[38:39]
	v_pk_mul_f32 v[130:131], v[130:131], s[24:25]
	v_pk_fma_f32 v[192:193], v[54:55], s[2:3], v[188:189] neg_lo:[1,0,0] neg_hi:[1,0,0]
	v_pk_fma_f32 v[194:195], v[54:55], s[2:3], v[188:189]
	v_pk_fma_f32 v[208:209], v[54:55], s[12:13], v[130:131]
	v_mov_b32_e32 v193, v195
	v_pk_add_f32 v[164:165], v[192:193], v[164:165]
	v_pk_mul_f32 v[192:193], v[142:143], s[40:41]
	v_pk_mul_f32 v[142:143], v[142:143], s[44:45]
	v_pk_fma_f32 v[196:197], v[110:111], s[14:15], v[192:193] neg_lo:[1,0,0] neg_hi:[1,0,0]
	v_pk_fma_f32 v[198:199], v[110:111], s[14:15], v[192:193]
	v_pk_fma_f32 v[210:211], v[110:111], s[22:23], v[142:143]
	v_mov_b32_e32 v197, v199
	;; [unrolled: 7-line block ×3, first 2 shown]
	v_pk_add_f32 v[164:165], v[200:201], v[164:165]
	v_pk_fma_f32 v[200:201], v[38:39], s[14:15], v[124:125]
	v_pk_fma_f32 v[124:125], v[38:39], s[14:15], v[124:125] neg_lo:[0,0,1] neg_hi:[0,0,1]
	v_mov_b32_e32 v127, v201
	v_pk_add_f32 v[126:127], v[36:37], v[126:127]
	v_mov_b32_e32 v201, v125
	v_pk_add_f32 v[126:127], v[204:205], v[126:127]
	v_pk_fma_f32 v[204:205], v[54:55], s[12:13], v[130:131] neg_lo:[1,0,0] neg_hi:[1,0,0]
	v_pk_fma_f32 v[124:125], v[48:49], s[18:19], v[128:129] neg_lo:[0,0,1] neg_hi:[0,0,1]
	v_mov_b32_e32 v205, v209
	v_pk_add_f32 v[126:127], v[204:205], v[126:127]
	v_pk_fma_f32 v[204:205], v[110:111], s[22:23], v[142:143] neg_lo:[1,0,0] neg_hi:[1,0,0]
	v_mov_b32_e32 v207, v125
	v_mov_b32_e32 v205, v211
	v_pk_add_f32 v[126:127], v[204:205], v[126:127]
	v_pk_fma_f32 v[204:205], v[116:117], s[10:11], v[144:145] neg_lo:[1,0,0] neg_hi:[1,0,0]
	v_pk_add_f32 v[124:125], v[36:37], v[200:201]
	v_mov_b32_e32 v205, v213
	v_pk_add_f32 v[126:127], v[204:205], v[126:127]
	ds_write2_b64 v65, v[164:165], v[126:127] offset0:132 offset1:165
	v_pk_fma_f32 v[126:127], v[54:55], s[12:13], v[130:131] neg_lo:[0,0,1] neg_hi:[0,0,1]
	v_pk_fma_f32 v[128:129], v[54:55], s[2:3], v[188:189] neg_lo:[0,0,1] neg_hi:[0,0,1]
	v_mov_b32_e32 v209, v127
	v_pk_fma_f32 v[126:127], v[110:111], s[22:23], v[142:143] neg_lo:[0,0,1] neg_hi:[0,0,1]
	v_pk_add_f32 v[124:125], v[206:207], v[124:125]
	v_mov_b32_e32 v211, v127
	v_pk_fma_f32 v[126:127], v[116:117], s[10:11], v[144:145] neg_lo:[0,0,1] neg_hi:[0,0,1]
	v_mov_b32_e32 v195, v129
	v_mov_b32_e32 v213, v127
	v_pk_fma_f32 v[126:127], v[38:39], s[12:13], v[134:135] neg_lo:[0,0,1] neg_hi:[0,0,1]
	v_pk_fma_f32 v[128:129], v[110:111], s[14:15], v[192:193] neg_lo:[0,0,1] neg_hi:[0,0,1]
	v_mov_b32_e32 v183, v127
	v_pk_fma_f32 v[126:127], v[48:49], s[26:27], v[186:187] neg_lo:[0,0,1] neg_hi:[0,0,1]
	v_pk_add_f32 v[124:125], v[208:209], v[124:125]
	v_mov_b32_e32 v191, v127
	v_pk_add_f32 v[126:127], v[36:37], v[182:183]
	v_mov_b32_e32 v199, v129
	v_pk_add_f32 v[126:127], v[190:191], v[126:127]
	v_pk_fma_f32 v[128:129], v[116:117], s[22:23], v[196:197] neg_lo:[0,0,1] neg_hi:[0,0,1]
	v_pk_add_f32 v[126:127], v[194:195], v[126:127]
	v_pk_add_f32 v[124:125], v[210:211], v[124:125]
	;; [unrolled: 1-line block ×3, first 2 shown]
	v_mov_b32_e32 v203, v129
	v_pk_add_f32 v[124:125], v[212:213], v[124:125]
	v_pk_add_f32 v[126:127], v[202:203], v[126:127]
	ds_write2_b64 v65, v[124:125], v[126:127] offset0:198 offset1:231
	v_pk_fma_f32 v[126:127], v[54:55], s[22:23], v[170:171] neg_lo:[0,0,1] neg_hi:[0,0,1]
	v_pk_fma_f32 v[124:125], v[38:39], s[10:11], v[160:161] neg_lo:[0,0,1] neg_hi:[0,0,1]
	v_mov_b32_e32 v177, v127
	v_pk_fma_f32 v[126:127], v[110:111], s[2:3], v[174:175] neg_lo:[0,0,1] neg_hi:[0,0,1]
	v_mov_b32_e32 v167, v125
	v_mov_b32_e32 v181, v127
	v_pk_fma_f32 v[126:127], v[116:117], s[12:13], v[178:179] neg_lo:[0,0,1] neg_hi:[0,0,1]
	v_pk_fma_f32 v[124:125], v[48:49], s[28:29], v[168:169] neg_lo:[0,0,1] neg_hi:[0,0,1]
	v_mov_b32_e32 v185, v127
	v_pk_fma_f32 v[126:127], v[38:39], s[16:17], v[132:133] neg_lo:[0,0,1] neg_hi:[0,0,1]
	v_pk_fma_f32 v[38:39], v[38:39], s[2:3], v[46:47] neg_lo:[0,0,1] neg_hi:[0,0,1]
	v_mov_b32_e32 v139, v127
	v_pk_fma_f32 v[128:129], v[48:49], s[12:13], v[146:147] neg_lo:[0,0,1] neg_hi:[0,0,1]
	v_mov_b32_e32 v45, v39
	;; [unrolled: 2-line block ×3, first 2 shown]
	v_pk_add_f32 v[124:125], v[36:37], v[166:167]
	v_pk_add_f32 v[126:127], v[36:37], v[138:139]
	v_mov_b32_e32 v151, v129
	v_pk_fma_f32 v[128:129], v[54:55], s[28:29], v[148:149] neg_lo:[0,0,1] neg_hi:[0,0,1]
	v_pk_add_f32 v[36:37], v[36:37], v[44:45]
	v_mov_b32_e32 v51, v39
	v_pk_fma_f32 v[38:39], v[54:55], s[10:11], v[108:109] neg_lo:[0,0,1] neg_hi:[0,0,1]
	v_pk_add_f32 v[124:125], v[172:173], v[124:125]
	v_pk_add_f32 v[126:127], v[150:151], v[126:127]
	v_mov_b32_e32 v155, v129
	v_pk_fma_f32 v[128:129], v[110:111], s[26:27], v[152:153] neg_lo:[0,0,1] neg_hi:[0,0,1]
	v_pk_add_f32 v[36:37], v[50:51], v[36:37]
	v_mov_b32_e32 v107, v39
	v_pk_fma_f32 v[38:39], v[110:111], s[12:13], v[114:115] neg_lo:[0,0,1] neg_hi:[0,0,1]
	;; [unrolled: 7-line block ×3, first 2 shown]
	v_pk_add_f32 v[124:125], v[180:181], v[124:125]
	v_pk_add_f32 v[126:127], v[158:159], v[126:127]
	v_mov_b32_e32 v163, v129
	v_pk_add_f32 v[36:37], v[112:113], v[36:37]
	v_mov_b32_e32 v141, v39
	v_pk_add_f32 v[124:125], v[184:185], v[124:125]
	v_pk_add_f32 v[126:127], v[162:163], v[126:127]
	;; [unrolled: 1-line block ×3, first 2 shown]
	ds_write2_b64 v5, v[124:125], v[126:127] offset0:8 offset1:41
	ds_write_b64 v65, v[36:37] offset:2640
	s_waitcnt lgkmcnt(0)
	s_barrier
	global_load_dwordx2 v[42:43], v[42:43], off offset:2904
	s_nop 0
	global_load_dwordx2 v[44:45], v40, s[8:9] offset:264
	global_load_dwordx2 v[46:47], v40, s[8:9] offset:528
	;; [unrolled: 1-line block ×10, first 2 shown]
	ds_read2_b64 v[36:39], v65 offset1:33
	s_mov_b32 s8, s11
	s_mov_b32 s44, s13
	s_waitcnt vmcnt(10) lgkmcnt(0)
	v_mul_f32_e32 v7, v37, v43
	v_mul_f32_e32 v115, v36, v43
	v_fma_f32 v114, v36, v42, -v7
	v_fmac_f32_e32 v115, v37, v42
	ds_read2_b64 v[40:43], v65 offset0:66 offset1:99
	s_waitcnt vmcnt(9)
	v_mul_f32_e32 v7, v39, v45
	v_mul_f32_e32 v37, v38, v45
	v_fma_f32 v36, v38, v44, -v7
	v_fmac_f32_e32 v37, v39, v44
	ds_write2_b64 v65, v[114:115], v[36:37] offset1:33
	ds_read2_b64 v[36:39], v65 offset0:132 offset1:165
	s_waitcnt vmcnt(8) lgkmcnt(2)
	v_mul_f32_e32 v7, v41, v47
	v_mul_f32_e32 v45, v40, v47
	v_fma_f32 v44, v40, v46, -v7
	v_fmac_f32_e32 v45, v41, v46
	s_waitcnt vmcnt(7)
	v_mul_f32_e32 v7, v43, v49
	v_mul_f32_e32 v41, v42, v49
	v_fma_f32 v40, v42, v48, -v7
	v_fmac_f32_e32 v41, v43, v48
	ds_write2_b64 v65, v[44:45], v[40:41] offset0:66 offset1:99
	s_waitcnt vmcnt(6) lgkmcnt(1)
	v_mul_f32_e32 v7, v37, v51
	v_mul_f32_e32 v45, v36, v51
	ds_read2_b64 v[40:43], v65 offset0:198 offset1:231
	v_fma_f32 v44, v36, v50, -v7
	v_fmac_f32_e32 v45, v37, v50
	s_waitcnt vmcnt(5)
	v_mul_f32_e32 v7, v39, v53
	v_mul_f32_e32 v37, v38, v53
	v_fma_f32 v36, v38, v52, -v7
	v_fmac_f32_e32 v37, v39, v52
	ds_write2_b64 v65, v[44:45], v[36:37] offset0:132 offset1:165
	ds_read2_b64 v[36:39], v5 offset0:8 offset1:41
	s_waitcnt vmcnt(4) lgkmcnt(2)
	v_mul_f32_e32 v7, v41, v55
	v_mul_f32_e32 v45, v40, v55
	v_fma_f32 v44, v40, v54, -v7
	v_fmac_f32_e32 v45, v41, v54
	s_waitcnt vmcnt(3)
	v_mul_f32_e32 v7, v43, v107
	v_mul_f32_e32 v41, v42, v107
	v_fma_f32 v40, v42, v106, -v7
	v_fmac_f32_e32 v41, v43, v106
	ds_write2_b64 v65, v[44:45], v[40:41] offset0:198 offset1:231
	s_waitcnt vmcnt(2) lgkmcnt(1)
	v_mul_f32_e32 v7, v37, v109
	v_mul_f32_e32 v41, v36, v109
	v_fma_f32 v40, v36, v108, -v7
	v_fmac_f32_e32 v41, v37, v108
	ds_read_b64 v[36:37], v65 offset:2640
	s_waitcnt vmcnt(1)
	v_mul_f32_e32 v7, v39, v111
	v_mul_f32_e32 v43, v38, v111
	v_fma_f32 v42, v38, v110, -v7
	v_fmac_f32_e32 v43, v39, v110
	s_waitcnt vmcnt(0) lgkmcnt(0)
	v_mul_f32_e32 v7, v37, v113
	v_mul_f32_e32 v39, v36, v113
	v_fma_f32 v38, v36, v112, -v7
	v_fmac_f32_e32 v39, v37, v112
	ds_write2_b64 v5, v[40:41], v[42:43] offset0:8 offset1:41
	ds_write_b64 v65, v[38:39] offset:2640
	s_waitcnt lgkmcnt(0)
	s_barrier
	ds_read2_b64 v[36:39], v65 offset1:33
	ds_read2_b64 v[46:49], v65 offset0:66 offset1:99
	ds_read2_b64 v[106:109], v65 offset0:132 offset1:165
	;; [unrolled: 1-line block ×4, first 2 shown]
	ds_read_b64 v[42:43], v65 offset:2640
	s_waitcnt lgkmcnt(5)
	v_pk_add_f32 v[40:41], v[36:37], v[38:39]
	s_waitcnt lgkmcnt(0)
	v_pk_add_f32 v[40:41], v[40:41], v[46:47]
	v_pk_add_f32 v[50:51], v[52:53], v[48:49]
	;; [unrolled: 1-line block ×5, first 2 shown]
	v_mov_b32_e32 v132, v50
	v_pk_add_f32 v[40:41], v[40:41], v[108:109]
	v_mov_b32_e32 v131, v51
	v_pk_add_f32 v[40:41], v[40:41], v[110:111]
	s_barrier
	v_pk_add_f32 v[40:41], v[40:41], v[112:113]
	s_nop 0
	v_pk_add_f32 v[40:41], v[40:41], v[52:53]
	v_pk_add_f32 v[52:53], v[48:49], v[52:53] neg_lo:[0,1] neg_hi:[0,1]
	v_pk_add_f32 v[40:41], v[40:41], v[54:55]
	v_pk_add_f32 v[48:49], v[108:109], v[110:111] neg_lo:[0,1] neg_hi:[0,1]
	v_pk_add_f32 v[114:115], v[40:41], v[42:43]
	v_pk_add_f32 v[40:41], v[42:43], v[38:39]
	v_pk_add_f32 v[38:39], v[38:39], v[42:43] neg_lo:[0,1] neg_hi:[0,1]
	v_pk_add_f32 v[42:43], v[54:55], v[46:47]
	v_pk_add_f32 v[46:47], v[46:47], v[54:55] neg_lo:[0,1] neg_hi:[0,1]
	v_mov_b32_e32 v124, v40
	v_mov_b32_e32 v125, v38
	;; [unrolled: 1-line block ×6, first 2 shown]
	v_pk_mul_f32 v[138:139], v[124:125], s[38:39]
	v_pk_add_f32 v[54:55], v[112:113], v[106:107]
	v_pk_add_f32 v[106:107], v[106:107], v[112:113] neg_lo:[0,1] neg_hi:[0,1]
	v_mov_b32_e32 v126, v47
	v_mov_b32_e32 v127, v43
	;; [unrolled: 1-line block ×3, first 2 shown]
	v_pk_fma_f32 v[108:109], v[116:117], s[2:3], v[138:139] neg_lo:[1,0,0] neg_hi:[1,0,0]
	v_pk_fma_f32 v[140:141], v[116:117], s[2:3], v[138:139]
	v_pk_mul_f32 v[142:143], v[128:129], s[20:21]
	v_pk_fma_f32 v[138:139], v[116:117], s[2:3], v[138:139] neg_lo:[0,0,1] neg_hi:[0,0,1]
	v_mov_b32_e32 v130, v53
	v_mov_b32_e32 v136, v54
	;; [unrolled: 1-line block ×4, first 2 shown]
	v_pk_fma_f32 v[110:111], v[126:127], s[16:17], v[142:143] neg_lo:[1,0,0] neg_hi:[1,0,0]
	v_pk_fma_f32 v[144:145], v[126:127], s[16:17], v[142:143]
	v_pk_mul_f32 v[146:147], v[132:133], s[42:43]
	v_mov_b32_e32 v141, v139
	v_pk_fma_f32 v[142:143], v[126:127], s[16:17], v[142:143] neg_lo:[0,0,1] neg_hi:[0,0,1]
	v_mov_b32_e32 v134, v107
	v_mov_b32_e32 v135, v55
	;; [unrolled: 1-line block ×3, first 2 shown]
	v_pk_fma_f32 v[112:113], v[130:131], s[10:11], v[146:147] neg_lo:[1,0,0] neg_hi:[1,0,0]
	v_pk_fma_f32 v[148:149], v[130:131], s[10:11], v[146:147]
	v_pk_mul_f32 v[150:151], v[136:137], s[24:25]
	v_mov_b32_e32 v145, v143
	v_mov_b32_e32 v142, v44
	;; [unrolled: 1-line block ×3, first 2 shown]
	v_pk_fma_f32 v[146:147], v[130:131], s[10:11], v[146:147] neg_lo:[0,0,1] neg_hi:[0,0,1]
	v_pk_add_f32 v[140:141], v[36:37], v[140:141]
	v_mov_b32_e32 v113, v149
	v_pk_fma_f32 v[152:153], v[134:135], s[12:13], v[150:151] neg_lo:[1,0,0] neg_hi:[1,0,0]
	v_pk_fma_f32 v[154:155], v[134:135], s[12:13], v[150:151]
	v_mov_b32_e32 v138, v49
	v_mov_b32_e32 v139, v45
	;; [unrolled: 1-line block ×3, first 2 shown]
	v_pk_mul_f32 v[146:147], v[142:143], s[40:41]
	v_pk_fma_f32 v[150:151], v[134:135], s[12:13], v[150:151] neg_lo:[0,0,1] neg_hi:[0,0,1]
	v_pk_add_f32 v[140:141], v[144:145], v[140:141]
	v_mov_b32_e32 v153, v155
	v_mov_b32_e32 v155, v151
	v_pk_fma_f32 v[150:151], v[138:139], s[14:15], v[146:147] neg_lo:[1,0,0] neg_hi:[1,0,0]
	v_pk_fma_f32 v[156:157], v[138:139], s[14:15], v[146:147]
	v_pk_fma_f32 v[146:147], v[138:139], s[14:15], v[146:147] neg_lo:[0,0,1] neg_hi:[0,0,1]
	v_pk_add_f32 v[140:141], v[148:149], v[140:141]
	v_mov_b32_e32 v151, v157
	v_mov_b32_e32 v157, v147
	v_pk_mul_f32 v[144:145], v[38:39], s[10:11] op_sel_hi:[1,0]
	v_pk_add_f32 v[140:141], v[154:155], v[140:141]
	v_pk_fma_f32 v[146:147], v[40:41], s[8:9], v[144:145] op_sel:[0,0,1] op_sel_hi:[1,0,0]
	v_pk_fma_f32 v[144:145], v[40:41], s[8:9], v[144:145] op_sel:[0,0,1] op_sel_hi:[1,0,0] neg_lo:[0,0,1] neg_hi:[0,0,1]
	v_pk_add_f32 v[140:141], v[156:157], v[140:141]
	v_pk_mul_f32 v[154:155], v[46:47], s[28:29] op_sel_hi:[1,0]
	v_mov_b32_e32 v148, v146
	v_mov_b32_e32 v149, v145
	ds_write2_b64 v97, v[114:115], v[140:141] offset1:1
	v_pk_fma_f32 v[114:115], v[42:43], s[40:41], v[154:155] op_sel:[0,0,1] op_sel_hi:[1,0,0]
	v_pk_fma_f32 v[140:141], v[42:43], s[40:41], v[154:155] op_sel:[0,0,1] op_sel_hi:[1,0,0] neg_lo:[0,0,1] neg_hi:[0,0,1]
	v_mov_b32_e32 v154, v114
	v_mov_b32_e32 v155, v141
	v_pk_add_f32 v[148:149], v[36:37], v[148:149]
	s_mov_b32 s38, s17
	v_pk_add_f32 v[148:149], v[154:155], v[148:149]
	v_pk_mul_f32 v[154:155], v[52:53], s[22:23] op_sel_hi:[1,0]
	s_mov_b32 s42, s3
	v_pk_fma_f32 v[156:157], v[50:51], s[38:39], v[154:155] op_sel:[0,0,1] op_sel_hi:[1,0,0]
	v_pk_fma_f32 v[154:155], v[50:51], s[38:39], v[154:155] op_sel:[0,0,1] op_sel_hi:[1,0,0] neg_lo:[0,0,1] neg_hi:[0,0,1]
	v_mov_b32_e32 v158, v156
	v_mov_b32_e32 v159, v155
	v_pk_add_f32 v[148:149], v[158:159], v[148:149]
	v_pk_mul_f32 v[158:159], v[106:107], s[2:3] op_sel_hi:[1,0]
	v_pk_mul_f32 v[124:125], v[124:125], s[20:21]
	v_pk_fma_f32 v[160:161], v[54:55], s[42:43], v[158:159] op_sel:[0,0,1] op_sel_hi:[1,0,0]
	v_pk_fma_f32 v[158:159], v[54:55], s[42:43], v[158:159] op_sel:[0,0,1] op_sel_hi:[1,0,0] neg_lo:[0,0,1] neg_hi:[0,0,1]
	v_mov_b32_e32 v162, v160
	v_mov_b32_e32 v163, v159
	v_pk_add_f32 v[148:149], v[162:163], v[148:149]
	v_pk_mul_f32 v[162:163], v[48:49], s[12:13] op_sel_hi:[1,0]
	v_pk_fma_f32 v[168:169], v[116:117], s[16:17], v[124:125]
	v_pk_fma_f32 v[164:165], v[44:45], s[44:45], v[162:163] op_sel:[0,0,1] op_sel_hi:[1,0,0]
	v_pk_fma_f32 v[162:163], v[44:45], s[44:45], v[162:163] op_sel:[0,0,1] op_sel_hi:[1,0,0] neg_lo:[0,0,1] neg_hi:[0,0,1]
	v_mov_b32_e32 v166, v164
	v_mov_b32_e32 v167, v163
	v_pk_add_f32 v[148:149], v[166:167], v[148:149]
	v_pk_fma_f32 v[166:167], v[116:117], s[16:17], v[124:125] neg_lo:[1,0,0] neg_hi:[1,0,0]
	v_pk_fma_f32 v[116:117], v[116:117], s[16:17], v[124:125] neg_lo:[0,0,1] neg_hi:[0,0,1]
	v_mov_b32_e32 v167, v169
	v_mov_b32_e32 v169, v117
	v_pk_mul_f32 v[116:117], v[128:129], s[24:25]
	v_mov_b32_e32 v145, v147
	v_pk_fma_f32 v[124:125], v[126:127], s[12:13], v[116:117] neg_lo:[1,0,0] neg_hi:[1,0,0]
	v_pk_fma_f32 v[128:129], v[126:127], s[12:13], v[116:117]
	v_pk_fma_f32 v[116:117], v[126:127], s[12:13], v[116:117] neg_lo:[0,0,1] neg_hi:[0,0,1]
	v_mov_b32_e32 v125, v129
	v_mov_b32_e32 v129, v117
	v_pk_add_f32 v[116:117], v[36:37], v[168:169]
	v_pk_mul_f32 v[126:127], v[132:133], s[30:31]
	v_pk_add_f32 v[116:117], v[128:129], v[116:117]
	v_pk_fma_f32 v[128:129], v[130:131], s[28:29], v[126:127] neg_lo:[1,0,0] neg_hi:[1,0,0]
	v_pk_fma_f32 v[132:133], v[130:131], s[28:29], v[126:127]
	v_pk_fma_f32 v[126:127], v[130:131], s[28:29], v[126:127] neg_lo:[0,0,1] neg_hi:[0,0,1]
	v_mov_b32_e32 v129, v133
	v_mov_b32_e32 v133, v127
	v_pk_mul_f32 v[126:127], v[136:137], s[34:35]
	v_pk_add_f32 v[116:117], v[132:133], v[116:117]
	v_pk_fma_f32 v[130:131], v[134:135], s[26:27], v[126:127] neg_lo:[1,0,0] neg_hi:[1,0,0]
	v_pk_fma_f32 v[132:133], v[134:135], s[26:27], v[126:127]
	v_pk_fma_f32 v[126:127], v[134:135], s[26:27], v[126:127] neg_lo:[0,0,1] neg_hi:[0,0,1]
	v_mov_b32_e32 v131, v133
	v_mov_b32_e32 v133, v127
	;; [unrolled: 7-line block ×3, first 2 shown]
	v_pk_add_f32 v[116:117], v[134:135], v[116:117]
	ds_write2_b64 v97, v[116:117], v[148:149] offset0:2 offset1:3
	v_pk_mul_f32 v[116:117], v[38:39], s[12:13] op_sel_hi:[1,0]
	v_pk_mul_f32 v[136:137], v[46:47], s[26:27] op_sel_hi:[1,0]
	v_pk_fma_f32 v[126:127], v[40:41], s[44:45], v[116:117] op_sel:[0,0,1] op_sel_hi:[1,0,0]
	v_pk_fma_f32 v[116:117], v[40:41], s[44:45], v[116:117] op_sel:[0,0,1] op_sel_hi:[1,0,0] neg_lo:[0,0,1] neg_hi:[0,0,1]
	v_mov_b32_e32 v134, v126
	v_mov_b32_e32 v135, v117
	v_pk_fma_f32 v[138:139], v[42:43], s[8:9], v[136:137] op_sel:[0,0,1] op_sel_hi:[1,0,0]
	v_pk_fma_f32 v[136:137], v[42:43], s[8:9], v[136:137] op_sel:[0,0,1] op_sel_hi:[1,0,0] neg_lo:[0,0,1] neg_hi:[0,0,1]
	v_mov_b32_e32 v142, v138
	v_mov_b32_e32 v143, v137
	v_pk_add_f32 v[134:135], v[36:37], v[134:135]
	v_pk_mul_f32 v[38:39], v[38:39], s[14:15] op_sel_hi:[1,0]
	v_pk_add_f32 v[134:135], v[142:143], v[134:135]
	v_pk_mul_f32 v[142:143], v[52:53], s[2:3] op_sel_hi:[1,0]
	v_mov_b32_e32 v117, v127
	v_pk_fma_f32 v[148:149], v[50:51], s[42:43], v[142:143] op_sel:[0,0,1] op_sel_hi:[1,0,0]
	v_pk_fma_f32 v[142:143], v[50:51], s[42:43], v[142:143] op_sel:[0,0,1] op_sel_hi:[1,0,0] neg_lo:[0,0,1] neg_hi:[0,0,1]
	v_mov_b32_e32 v168, v148
	v_mov_b32_e32 v169, v143
	v_pk_add_f32 v[134:135], v[168:169], v[134:135]
	v_pk_mul_f32 v[168:169], v[106:107], s[14:15] op_sel_hi:[1,0]
	v_mov_b32_e32 v137, v139
	v_pk_fma_f32 v[170:171], v[54:55], s[40:41], v[168:169] op_sel:[0,0,1] op_sel_hi:[1,0,0]
	v_pk_fma_f32 v[168:169], v[54:55], s[40:41], v[168:169] op_sel:[0,0,1] op_sel_hi:[1,0,0] neg_lo:[0,0,1] neg_hi:[0,0,1]
	v_mov_b32_e32 v172, v170
	v_mov_b32_e32 v173, v169
	v_pk_add_f32 v[134:135], v[172:173], v[134:135]
	v_pk_mul_f32 v[172:173], v[48:49], s[22:23] op_sel_hi:[1,0]
	v_pk_mul_f32 v[48:49], v[48:49], s[10:11] op_sel_hi:[1,0]
	v_pk_fma_f32 v[174:175], v[44:45], s[38:39], v[172:173] op_sel:[0,0,1] op_sel_hi:[1,0,0]
	v_pk_fma_f32 v[172:173], v[44:45], s[38:39], v[172:173] op_sel:[0,0,1] op_sel_hi:[1,0,0] neg_lo:[0,0,1] neg_hi:[0,0,1]
	v_mov_b32_e32 v176, v174
	v_mov_b32_e32 v177, v173
	v_pk_add_f32 v[134:135], v[176:177], v[134:135]
	v_pk_fma_f32 v[176:177], v[40:41], s[40:41], v[38:39] op_sel:[0,0,1] op_sel_hi:[1,0,0]
	v_pk_fma_f32 v[40:41], v[40:41], s[40:41], v[38:39] op_sel:[0,0,1] op_sel_hi:[1,0,0] neg_lo:[0,0,1] neg_hi:[0,0,1]
	v_pk_mul_f32 v[38:39], v[46:47], s[18:19] op_sel_hi:[1,0]
	v_pk_fma_f32 v[180:181], v[44:45], s[8:9], v[48:49] op_sel:[0,0,1] op_sel_hi:[1,0,0]
	v_pk_fma_f32 v[46:47], v[42:43], s[42:43], v[38:39] op_sel:[0,0,1] op_sel_hi:[1,0,0]
	v_pk_fma_f32 v[42:43], v[42:43], s[42:43], v[38:39] op_sel:[0,0,1] op_sel_hi:[1,0,0] neg_lo:[0,0,1] neg_hi:[0,0,1]
	v_pk_mul_f32 v[38:39], v[52:53], s[12:13] op_sel_hi:[1,0]
	v_pk_fma_f32 v[44:45], v[44:45], s[8:9], v[48:49] op_sel:[0,0,1] op_sel_hi:[1,0,0] neg_lo:[0,0,1] neg_hi:[0,0,1]
	v_pk_fma_f32 v[52:53], v[50:51], s[44:45], v[38:39] op_sel:[0,0,1] op_sel_hi:[1,0,0]
	v_pk_fma_f32 v[50:51], v[50:51], s[44:45], v[38:39] op_sel:[0,0,1] op_sel_hi:[1,0,0] neg_lo:[0,0,1] neg_hi:[0,0,1]
	v_pk_mul_f32 v[38:39], v[106:107], s[22:23] op_sel_hi:[1,0]
	v_mov_b32_e32 v106, v46
	v_pk_fma_f32 v[178:179], v[54:55], s[38:39], v[38:39] op_sel:[0,0,1] op_sel_hi:[1,0,0]
	v_pk_fma_f32 v[54:55], v[54:55], s[38:39], v[38:39] op_sel:[0,0,1] op_sel_hi:[1,0,0] neg_lo:[0,0,1] neg_hi:[0,0,1]
	v_mov_b32_e32 v38, v176
	v_mov_b32_e32 v39, v41
	;; [unrolled: 1-line block ×3, first 2 shown]
	v_pk_add_f32 v[38:39], v[36:37], v[38:39]
	v_mov_b32_e32 v48, v180
	v_pk_add_f32 v[38:39], v[106:107], v[38:39]
	v_mov_b32_e32 v106, v52
	v_mov_b32_e32 v107, v51
	v_pk_add_f32 v[38:39], v[106:107], v[38:39]
	v_mov_b32_e32 v106, v178
	;; [unrolled: 3-line block ×4, first 2 shown]
	v_pk_add_f32 v[40:41], v[36:37], v[40:41]
	ds_write2_b64 v97, v[134:135], v[38:39] offset0:4 offset1:5
	v_pk_add_f32 v[38:39], v[36:37], v[166:167]
	v_pk_add_f32 v[48:49], v[36:37], v[108:109]
	;; [unrolled: 1-line block ×4, first 2 shown]
	v_mov_b32_e32 v141, v115
	v_pk_add_f32 v[36:37], v[36:37], v[144:145]
	v_pk_add_f32 v[38:39], v[124:125], v[38:39]
	v_mov_b32_e32 v51, v53
	v_mov_b32_e32 v143, v149
	v_pk_add_f32 v[42:43], v[136:137], v[42:43]
	v_mov_b32_e32 v155, v157
	v_pk_add_f32 v[36:37], v[140:141], v[36:37]
	v_pk_add_f32 v[38:39], v[128:129], v[38:39]
	;; [unrolled: 1-line block ×3, first 2 shown]
	v_mov_b32_e32 v55, v179
	v_pk_add_f32 v[40:41], v[50:51], v[40:41]
	v_mov_b32_e32 v169, v171
	v_pk_add_f32 v[42:43], v[142:143], v[42:43]
	;; [unrolled: 2-line block ×3, first 2 shown]
	v_pk_add_f32 v[38:39], v[130:131], v[38:39]
	v_pk_add_f32 v[48:49], v[112:113], v[48:49]
	;; [unrolled: 1-line block ×3, first 2 shown]
	v_mov_b32_e32 v45, v181
	v_pk_add_f32 v[42:43], v[168:169], v[42:43]
	v_mov_b32_e32 v173, v175
	v_pk_add_f32 v[36:37], v[158:159], v[36:37]
	;; [unrolled: 2-line block ×3, first 2 shown]
	v_pk_add_f32 v[106:107], v[132:133], v[38:39]
	v_pk_add_f32 v[40:41], v[44:45], v[40:41]
	;; [unrolled: 1-line block ×5, first 2 shown]
	ds_write2_b64 v97, v[40:41], v[42:43] offset0:6 offset1:7
	ds_write2_b64 v97, v[36:37], v[106:107] offset0:8 offset1:9
	ds_write_b64 v97, v[38:39] offset:80
	s_waitcnt lgkmcnt(0)
	s_barrier
	ds_read2_b64 v[48:51], v65 offset1:33
	ds_read2_b64 v[40:43], v65 offset0:66 offset1:121
	ds_read2_b64 v[52:55], v19 offset0:114 offset1:147
	;; [unrolled: 1-line block ×3, first 2 shown]
	ds_read_b64 v[116:117], v65 offset:2464
	v_mov_b32_e32 v5, v4
	v_mov_b32_e32 v7, v6
	;; [unrolled: 1-line block ×6, first 2 shown]
	s_and_saveexec_b64 s[2:3], vcc
	s_cbranch_execz .LBB0_7
; %bb.6:
	ds_read2_b64 v[36:39], v65 offset0:99 offset1:220
	ds_read_b64 v[82:83], v65 offset:2728
	s_waitcnt lgkmcnt(1)
	v_mov_b64_e32 v[106:107], v[36:37]
.LBB0_7:
	s_or_b64 exec, exec, s[2:3]
	s_waitcnt lgkmcnt(3)
	v_pk_mul_f32 v[36:37], v[94:95], v[42:43]
	s_waitcnt lgkmcnt(2)
	v_pk_mul_f32 v[88:89], v[88:89], v[52:53]
	v_pk_fma_f32 v[94:95], v[12:13], v[42:43], v[36:37] op_sel:[0,0,1] op_sel_hi:[1,1,0]
	v_pk_fma_f32 v[12:13], v[12:13], v[42:43], v[36:37] op_sel:[0,0,1] op_sel_hi:[1,1,0] neg_lo:[0,0,1] neg_hi:[0,0,1]
	s_mov_b32 s2, 0x3f5db3d7
	v_mov_b32_e32 v95, v13
	v_pk_fma_f32 v[12:13], v[14:15], v[52:53], v[88:89] op_sel:[0,0,1] op_sel_hi:[1,1,0]
	v_pk_fma_f32 v[14:15], v[14:15], v[52:53], v[88:89] op_sel:[0,0,1] op_sel_hi:[1,1,0] neg_lo:[0,0,1] neg_hi:[0,0,1]
	s_waitcnt lgkmcnt(1)
	v_pk_mul_f32 v[92:93], v[92:93], v[44:45]
	v_mov_b32_e32 v13, v15
	v_pk_add_f32 v[14:15], v[48:49], v[94:95]
	v_pk_add_f32 v[36:37], v[94:95], v[12:13]
	;; [unrolled: 1-line block ×3, first 2 shown]
	v_pk_add_f32 v[12:13], v[94:95], v[12:13] neg_lo:[0,1] neg_hi:[0,1]
	v_pk_fma_f32 v[36:37], v[36:37], 0.5, v[48:49] op_sel_hi:[1,0,1] neg_lo:[1,0,0] neg_hi:[1,0,0]
	v_pk_mul_f32 v[12:13], v[12:13], s[2:3] op_sel_hi:[1,0]
	v_pk_mul_f32 v[90:91], v[90:91], v[54:55]
	v_pk_add_f32 v[42:43], v[36:37], v[12:13] op_sel:[0,1] op_sel_hi:[1,0] neg_lo:[0,1] neg_hi:[0,1]
	v_pk_add_f32 v[12:13], v[36:37], v[12:13] op_sel:[0,1] op_sel_hi:[1,0]
	s_waitcnt lgkmcnt(0)
	v_mov_b32_e32 v37, v13
	v_mov_b32_e32 v13, v43
	s_barrier
	ds_write_b64 v121, v[12:13] offset:176
	v_pk_fma_f32 v[12:13], v[8:9], v[44:45], v[92:93] op_sel:[0,0,1] op_sel_hi:[1,1,0]
	v_pk_fma_f32 v[8:9], v[8:9], v[44:45], v[92:93] op_sel:[0,0,1] op_sel_hi:[1,1,0] neg_lo:[0,0,1] neg_hi:[0,0,1]
	v_mov_b32_e32 v36, v42
	v_mov_b32_e32 v13, v9
	v_pk_fma_f32 v[8:9], v[10:11], v[54:55], v[90:91] op_sel:[0,0,1] op_sel_hi:[1,1,0]
	v_pk_fma_f32 v[10:11], v[10:11], v[54:55], v[90:91] op_sel:[0,0,1] op_sel_hi:[1,1,0] neg_lo:[0,0,1] neg_hi:[0,0,1]
	ds_write2_b64 v121, v[14:15], v[36:37] offset1:11
	v_mov_b32_e32 v9, v11
	v_pk_add_f32 v[10:11], v[50:51], v[12:13]
	v_pk_add_f32 v[14:15], v[12:13], v[8:9]
	;; [unrolled: 1-line block ×3, first 2 shown]
	v_pk_add_f32 v[8:9], v[12:13], v[8:9] neg_lo:[0,1] neg_hi:[0,1]
	v_pk_fma_f32 v[14:15], v[14:15], 0.5, v[50:51] op_sel_hi:[1,0,1] neg_lo:[1,0,0] neg_hi:[1,0,0]
	v_pk_mul_f32 v[8:9], v[8:9], s[2:3] op_sel_hi:[1,0]
	v_pk_mul_f32 v[86:87], v[86:87], v[46:47]
	v_pk_add_f32 v[12:13], v[14:15], v[8:9] op_sel:[0,1] op_sel_hi:[1,0] neg_lo:[0,1] neg_hi:[0,1]
	v_pk_add_f32 v[8:9], v[14:15], v[8:9] op_sel:[0,1] op_sel_hi:[1,0]
	v_pk_mul_f32 v[84:85], v[84:85], v[116:117]
	v_mov_b32_e32 v15, v9
	v_mov_b32_e32 v9, v13
	ds_write_b64 v120, v[8:9] offset:176
	v_pk_fma_f32 v[8:9], v[4:5], v[46:47], v[86:87] op_sel:[0,0,1] op_sel_hi:[1,1,0]
	v_pk_fma_f32 v[4:5], v[4:5], v[46:47], v[86:87] op_sel:[0,0,1] op_sel_hi:[1,1,0] neg_lo:[0,0,1] neg_hi:[0,0,1]
	v_mov_b32_e32 v14, v12
	v_mov_b32_e32 v9, v5
	v_pk_fma_f32 v[4:5], v[6:7], v[116:117], v[84:85] op_sel:[0,0,1] op_sel_hi:[1,1,0]
	v_pk_fma_f32 v[6:7], v[6:7], v[116:117], v[84:85] op_sel:[0,0,1] op_sel_hi:[1,1,0] neg_lo:[0,0,1] neg_hi:[0,0,1]
	ds_write2_b64 v120, v[10:11], v[14:15] offset1:11
	v_mov_b32_e32 v5, v7
	v_pk_add_f32 v[6:7], v[40:41], v[8:9]
	v_pk_add_f32 v[10:11], v[8:9], v[4:5]
	;; [unrolled: 1-line block ×3, first 2 shown]
	v_pk_add_f32 v[4:5], v[8:9], v[4:5] neg_lo:[0,1] neg_hi:[0,1]
	v_pk_fma_f32 v[10:11], v[10:11], 0.5, v[40:41] op_sel_hi:[1,0,1] neg_lo:[1,0,0] neg_hi:[1,0,0]
	v_pk_mul_f32 v[4:5], v[4:5], s[2:3] op_sel_hi:[1,0]
	v_mov_b32_e32 v23, v22
	v_pk_add_f32 v[8:9], v[10:11], v[4:5] op_sel:[0,1] op_sel_hi:[1,0] neg_lo:[0,1] neg_hi:[0,1]
	v_pk_add_f32 v[4:5], v[10:11], v[4:5] op_sel:[0,1] op_sel_hi:[1,0]
	v_mov_b32_e32 v105, v104
	v_mov_b32_e32 v33, v32
	;; [unrolled: 1-line block ×20, first 2 shown]
	ds_write2_b64 v122, v[6:7], v[10:11] offset1:11
	ds_write_b64 v122, v[4:5] offset:176
	s_and_saveexec_b64 s[8:9], vcc
	s_cbranch_execz .LBB0_9
; %bb.8:
	v_mul_u32_u24_e32 v8, 33, v118
	v_pk_mul_f32 v[4:5], v[0:1], v[38:39] op_sel:[0,1]
	v_mov_b32_e32 v6, v83
	v_add_u32_sdwa v8, v8, v119 dst_sel:DWORD dst_unused:UNUSED_PAD src0_sel:DWORD src1_sel:BYTE_0
	v_pk_mul_f32 v[6:7], v[2:3], v[6:7] op_sel_hi:[1,0]
	v_lshl_add_u32 v10, v8, 3, v69
	v_pk_fma_f32 v[8:9], v[0:1], v[38:39], v[4:5] op_sel:[0,0,1] op_sel_hi:[1,1,0]
	v_pk_fma_f32 v[0:1], v[0:1], v[38:39], v[4:5] op_sel:[0,0,1] op_sel_hi:[1,0,0] neg_lo:[1,0,0] neg_hi:[1,0,0]
	s_nop 0
	v_mov_b32_e32 v9, v1
	v_pk_fma_f32 v[0:1], v[2:3], v[82:83], v[6:7] op_sel:[0,0,1] op_sel_hi:[1,1,0]
	v_pk_fma_f32 v[2:3], v[2:3], v[82:83], v[6:7] op_sel:[0,0,1] op_sel_hi:[1,0,0] neg_lo:[1,0,0] neg_hi:[1,0,0]
	s_nop 0
	v_mov_b32_e32 v1, v3
	v_pk_add_f32 v[2:3], v[106:107], v[8:9]
	v_pk_add_f32 v[4:5], v[8:9], v[0:1]
	;; [unrolled: 1-line block ×3, first 2 shown]
	v_pk_add_f32 v[0:1], v[8:9], v[0:1] neg_lo:[0,1] neg_hi:[0,1]
	v_pk_fma_f32 v[4:5], -0.5, v[4:5], v[106:107] op_sel_hi:[0,1,1]
	v_pk_mul_f32 v[0:1], v[0:1], s[2:3] op_sel_hi:[1,0]
	s_nop 0
	v_pk_add_f32 v[6:7], v[4:5], v[0:1] op_sel:[0,1] op_sel_hi:[1,0] neg_lo:[0,1] neg_hi:[0,1]
	v_pk_add_f32 v[0:1], v[4:5], v[0:1] op_sel:[0,1] op_sel_hi:[1,0]
	v_mov_b32_e32 v4, v6
	v_mov_b32_e32 v5, v1
	;; [unrolled: 1-line block ×3, first 2 shown]
	ds_write2_b64 v10, v[2:3], v[4:5] offset1:11
	ds_write_b64 v10, v[0:1] offset:176
.LBB0_9:
	s_or_b64 exec, exec, s[8:9]
	s_waitcnt lgkmcnt(0)
	s_barrier
	ds_read2_b64 v[10:13], v65 offset0:66 offset1:99
	ds_read2_b64 v[0:3], v65 offset1:33
	ds_read2_b64 v[36:39], v65 offset0:132 offset1:165
	ds_read2_b64 v[40:43], v65 offset0:198 offset1:231
	v_add_u32_e32 v8, 0x800, v65
	s_waitcnt lgkmcnt(3)
	v_pk_mul_f32 v[48:49], v[104:105], v[10:11]
	ds_read2_b64 v[44:47], v8 offset0:8 offset1:41
	ds_read_b64 v[14:15], v65 offset:2640
	v_pk_fma_f32 v[50:51], v[22:23], v[10:11], v[48:49] op_sel:[0,0,1] op_sel_hi:[1,1,0]
	v_pk_fma_f32 v[10:11], v[22:23], v[10:11], v[48:49] op_sel:[0,0,1] op_sel_hi:[1,1,0] neg_lo:[0,0,1] neg_hi:[0,0,1]
	v_mov_b32_e32 v4, s0
	v_mov_b32_e32 v51, v11
	v_pk_mul_f32 v[10:11], v[114:115], v[12:13]
	v_mov_b32_e32 v5, s1
	v_pk_fma_f32 v[22:23], v[32:33], v[12:13], v[10:11] op_sel:[0,0,1] op_sel_hi:[1,1,0]
	v_pk_fma_f32 v[10:11], v[32:33], v[12:13], v[10:11] op_sel:[0,0,1] op_sel_hi:[1,1,0] neg_lo:[0,0,1] neg_hi:[0,0,1]
	v_mad_u64_u32 v[6:7], s[0:1], s6, v64, 0
	v_mov_b32_e32 v23, v11
	s_waitcnt lgkmcnt(3)
	v_pk_mul_f32 v[10:11], v[102:103], v[36:37]
	s_mov_b32 s10, 0xbf0a6770
	v_pk_fma_f32 v[12:13], v[34:35], v[36:37], v[10:11] op_sel:[0,0,1] op_sel_hi:[1,1,0]
	v_pk_fma_f32 v[10:11], v[34:35], v[36:37], v[10:11] op_sel:[0,0,1] op_sel_hi:[1,1,0] neg_lo:[0,0,1] neg_hi:[0,0,1]
	s_mov_b32 s0, 0x3f575c64
	v_mov_b32_e32 v13, v11
	v_pk_mul_f32 v[10:11], v[112:113], v[38:39]
	s_mov_b32 s20, 0xbf68dda4
	v_pk_fma_f32 v[32:33], v[24:25], v[38:39], v[10:11] op_sel:[0,0,1] op_sel_hi:[1,1,0]
	v_pk_fma_f32 v[10:11], v[24:25], v[38:39], v[10:11] op_sel:[0,0,1] op_sel_hi:[1,1,0] neg_lo:[0,0,1] neg_hi:[0,0,1]
	s_mov_b32 s2, 0x3ed4b147
	v_mov_b32_e32 v33, v11
	s_waitcnt lgkmcnt(2)
	v_pk_mul_f32 v[10:11], v[100:101], v[40:41]
	s_mov_b32 s8, 0xbf7d64f0
	v_pk_fma_f32 v[24:25], v[26:27], v[40:41], v[10:11] op_sel:[0,0,1] op_sel_hi:[1,1,0]
	v_pk_fma_f32 v[10:11], v[26:27], v[40:41], v[10:11] op_sel:[0,0,1] op_sel_hi:[1,1,0] neg_lo:[0,0,1] neg_hi:[0,0,1]
	s_mov_b32 s6, 0xbe11bafb
	v_mov_b32_e32 v25, v11
	v_pk_mul_f32 v[10:11], v[110:111], v[42:43]
	s_mov_b32 s14, 0xbf4178ce
	v_pk_fma_f32 v[26:27], v[16:17], v[42:43], v[10:11] op_sel:[0,0,1] op_sel_hi:[1,1,0]
	v_pk_fma_f32 v[10:11], v[16:17], v[42:43], v[10:11] op_sel:[0,0,1] op_sel_hi:[1,1,0] neg_lo:[0,0,1] neg_hi:[0,0,1]
	s_mov_b32 s12, 0xbf27a4f4
	;; [unrolled: 13-line block ×3, first 2 shown]
	v_mov_b32_e32 v19, v11
	s_waitcnt lgkmcnt(0)
	v_pk_mul_f32 v[10:11], v[96:97], v[14:15]
	v_pk_add_f32 v[34:35], v[50:51], v[18:19]
	v_pk_fma_f32 v[28:29], v[30:31], v[14:15], v[10:11] op_sel:[0,0,1] op_sel_hi:[1,1,0]
	v_pk_fma_f32 v[10:11], v[30:31], v[14:15], v[10:11] op_sel:[0,0,1] op_sel_hi:[1,1,0] neg_lo:[0,0,1] neg_hi:[0,0,1]
	s_nop 0
	v_mov_b32_e32 v29, v11
	v_pk_mul_f32 v[10:11], v[20:21], v[2:3] op_sel:[1,0]
	s_nop 0
	v_pk_fma_f32 v[14:15], v[20:21], v[2:3], v[10:11] op_sel:[0,0,1] op_sel_hi:[1,1,0]
	v_pk_fma_f32 v[2:3], v[20:21], v[2:3], v[10:11] op_sel:[0,0,1] op_sel_hi:[0,1,0] neg_lo:[0,0,1] neg_hi:[0,0,1]
	v_mov_b32_e32 v15, v3
	v_pk_add_f32 v[2:3], v[0:1], v[14:15]
	v_pk_add_f32 v[10:11], v[14:15], v[28:29]
	;; [unrolled: 1-line block ×3, first 2 shown]
	v_pk_add_f32 v[14:15], v[14:15], v[28:29] neg_lo:[0,1] neg_hi:[0,1]
	v_pk_add_f32 v[2:3], v[2:3], v[22:23]
	v_pk_mul_f32 v[20:21], v[14:15], s[10:11] op_sel_hi:[1,0]
	v_pk_add_f32 v[2:3], v[2:3], v[12:13]
	s_nop 0
	v_pk_add_f32 v[2:3], v[2:3], v[32:33]
	s_nop 0
	;; [unrolled: 2-line block ×5, first 2 shown]
	v_pk_add_f32 v[2:3], v[2:3], v[18:19]
	v_pk_add_f32 v[18:19], v[50:51], v[18:19] neg_lo:[0,1] neg_hi:[0,1]
	v_pk_add_f32 v[2:3], v[2:3], v[28:29]
	v_pk_fma_f32 v[28:29], v[10:11], s[0:1], v[20:21] op_sel:[0,0,1] op_sel_hi:[1,0,0]
	v_pk_fma_f32 v[20:21], v[10:11], s[0:1], v[20:21] op_sel:[0,0,1] op_sel_hi:[1,0,0] neg_lo:[0,0,1] neg_hi:[0,0,1]
	v_pk_mul_f32 v[36:37], v[18:19], s[20:21] op_sel_hi:[1,0]
	v_mov_b32_e32 v30, v28
	v_mov_b32_e32 v31, v21
	v_pk_fma_f32 v[38:39], v[34:35], s[2:3], v[36:37] op_sel:[0,0,1] op_sel_hi:[1,0,0]
	v_pk_fma_f32 v[36:37], v[34:35], s[2:3], v[36:37] op_sel:[0,0,1] op_sel_hi:[1,0,0] neg_lo:[0,0,1] neg_hi:[0,0,1]
	v_pk_add_f32 v[30:31], v[0:1], v[30:31]
	v_mov_b32_e32 v40, v38
	v_mov_b32_e32 v41, v37
	v_pk_add_f32 v[30:31], v[40:41], v[30:31]
	v_pk_add_f32 v[40:41], v[22:23], v[16:17]
	v_pk_add_f32 v[16:17], v[22:23], v[16:17] neg_lo:[0,1] neg_hi:[0,1]
	v_pk_mul_f32 v[54:55], v[18:19], s[14:15] op_sel_hi:[1,0]
	v_pk_mul_f32 v[22:23], v[16:17], s[8:9] op_sel_hi:[1,0]
	v_pk_fma_f32 v[82:83], v[34:35], s[12:13], v[54:55] op_sel:[0,0,1] op_sel_hi:[1,0,0]
	v_pk_fma_f32 v[42:43], v[40:41], s[6:7], v[22:23] op_sel:[0,0,1] op_sel_hi:[1,0,0]
	v_pk_fma_f32 v[22:23], v[40:41], s[6:7], v[22:23] op_sel:[0,0,1] op_sel_hi:[1,0,0] neg_lo:[0,0,1] neg_hi:[0,0,1]
	v_mov_b32_e32 v44, v42
	v_mov_b32_e32 v45, v23
	v_pk_add_f32 v[30:31], v[44:45], v[30:31]
	v_pk_add_f32 v[44:45], v[12:13], v[26:27]
	v_pk_add_f32 v[12:13], v[12:13], v[26:27] neg_lo:[0,1] neg_hi:[0,1]
	v_pk_fma_f32 v[54:55], v[34:35], s[12:13], v[54:55] op_sel:[0,0,1] op_sel_hi:[1,0,0] neg_lo:[0,0,1] neg_hi:[0,0,1]
	v_pk_mul_f32 v[26:27], v[12:13], s[14:15] op_sel_hi:[1,0]
	v_mov_b32_e32 v84, v82
	v_pk_fma_f32 v[46:47], v[44:45], s[12:13], v[26:27] op_sel:[0,0,1] op_sel_hi:[1,0,0]
	v_pk_fma_f32 v[26:27], v[44:45], s[12:13], v[26:27] op_sel:[0,0,1] op_sel_hi:[1,0,0] neg_lo:[0,0,1] neg_hi:[0,0,1]
	v_mov_b32_e32 v48, v46
	v_mov_b32_e32 v49, v27
	v_pk_add_f32 v[30:31], v[48:49], v[30:31]
	v_pk_add_f32 v[48:49], v[32:33], v[24:25]
	v_pk_add_f32 v[24:25], v[32:33], v[24:25] neg_lo:[0,1] neg_hi:[0,1]
	v_mov_b32_e32 v85, v55
	v_pk_mul_f32 v[32:33], v[24:25], s[18:19] op_sel_hi:[1,0]
	v_pk_mul_f32 v[120:121], v[18:19], s[22:23] op_sel_hi:[1,0]
	v_pk_fma_f32 v[50:51], v[48:49], s[16:17], v[32:33] op_sel:[0,0,1] op_sel_hi:[1,0,0]
	v_pk_fma_f32 v[32:33], v[48:49], s[16:17], v[32:33] op_sel:[0,0,1] op_sel_hi:[1,0,0] neg_lo:[0,0,1] neg_hi:[0,0,1]
	v_mov_b32_e32 v52, v50
	v_mov_b32_e32 v53, v33
	v_pk_add_f32 v[30:31], v[52:53], v[30:31]
	ds_write2_b64 v65, v[2:3], v[30:31] offset1:33
	v_pk_mul_f32 v[2:3], v[14:15], s[20:21] op_sel_hi:[1,0]
	s_mov_b32 s20, 0x3e903f40
	v_pk_fma_f32 v[30:31], v[10:11], s[2:3], v[2:3] op_sel:[0,0,1] op_sel_hi:[1,0,0]
	v_pk_fma_f32 v[2:3], v[10:11], s[2:3], v[2:3] op_sel:[0,0,1] op_sel_hi:[1,0,0] neg_lo:[0,0,1] neg_hi:[0,0,1]
	v_mov_b32_e32 v52, v30
	v_mov_b32_e32 v53, v3
	v_pk_add_f32 v[52:53], v[0:1], v[52:53]
	v_pk_mul_f32 v[102:103], v[18:19], s[20:21] op_sel_hi:[1,0]
	v_pk_add_f32 v[52:53], v[84:85], v[52:53]
	v_pk_mul_f32 v[84:85], v[16:17], s[20:21] op_sel_hi:[1,0]
	v_pk_fma_f32 v[104:105], v[34:35], s[16:17], v[102:103] op_sel:[0,0,1] op_sel_hi:[1,0,0]
	v_pk_fma_f32 v[86:87], v[40:41], s[16:17], v[84:85] op_sel:[0,0,1] op_sel_hi:[1,0,0]
	v_pk_fma_f32 v[84:85], v[40:41], s[16:17], v[84:85] op_sel:[0,0,1] op_sel_hi:[1,0,0] neg_lo:[0,0,1] neg_hi:[0,0,1]
	v_mov_b32_e32 v88, v86
	v_mov_b32_e32 v89, v85
	v_pk_add_f32 v[52:53], v[88:89], v[52:53]
	v_pk_mul_f32 v[88:89], v[12:13], s[22:23] op_sel_hi:[1,0]
	v_pk_fma_f32 v[102:103], v[34:35], s[16:17], v[102:103] op_sel:[0,0,1] op_sel_hi:[1,0,0] neg_lo:[0,0,1] neg_hi:[0,0,1]
	v_pk_fma_f32 v[90:91], v[44:45], s[6:7], v[88:89] op_sel:[0,0,1] op_sel_hi:[1,0,0]
	v_pk_fma_f32 v[88:89], v[44:45], s[6:7], v[88:89] op_sel:[0,0,1] op_sel_hi:[1,0,0] neg_lo:[0,0,1] neg_hi:[0,0,1]
	v_mov_b32_e32 v92, v90
	v_mov_b32_e32 v93, v89
	v_pk_add_f32 v[52:53], v[92:93], v[52:53]
	v_pk_mul_f32 v[92:93], v[24:25], s[24:25] op_sel_hi:[1,0]
	v_mov_b32_e32 v106, v104
	v_pk_fma_f32 v[94:95], v[48:49], s[0:1], v[92:93] op_sel:[0,0,1] op_sel_hi:[1,0,0]
	v_pk_fma_f32 v[92:93], v[48:49], s[0:1], v[92:93] op_sel:[0,0,1] op_sel_hi:[1,0,0] neg_lo:[0,0,1] neg_hi:[0,0,1]
	v_mov_b32_e32 v96, v94
	v_mov_b32_e32 v97, v93
	v_pk_add_f32 v[52:53], v[96:97], v[52:53]
	v_pk_mul_f32 v[96:97], v[14:15], s[8:9] op_sel_hi:[1,0]
	v_mov_b32_e32 v107, v103
	v_pk_fma_f32 v[98:99], v[10:11], s[6:7], v[96:97] op_sel:[0,0,1] op_sel_hi:[1,0,0]
	v_pk_fma_f32 v[96:97], v[10:11], s[6:7], v[96:97] op_sel:[0,0,1] op_sel_hi:[1,0,0] neg_lo:[0,0,1] neg_hi:[0,0,1]
	v_mov_b32_e32 v100, v98
	v_mov_b32_e32 v101, v97
	v_pk_add_f32 v[100:101], v[0:1], v[100:101]
	s_mov_b32 s20, 0x3f68dda4
	v_pk_add_f32 v[100:101], v[106:107], v[100:101]
	v_pk_mul_f32 v[106:107], v[16:17], s[20:21] op_sel_hi:[1,0]
	v_pk_fma_f32 v[122:123], v[34:35], s[6:7], v[120:121] op_sel:[0,0,1] op_sel_hi:[1,0,0]
	v_pk_fma_f32 v[108:109], v[40:41], s[2:3], v[106:107] op_sel:[0,0,1] op_sel_hi:[1,0,0]
	v_pk_fma_f32 v[106:107], v[40:41], s[2:3], v[106:107] op_sel:[0,0,1] op_sel_hi:[1,0,0] neg_lo:[0,0,1] neg_hi:[0,0,1]
	v_mov_b32_e32 v110, v108
	v_mov_b32_e32 v111, v107
	v_pk_add_f32 v[100:101], v[110:111], v[100:101]
	v_pk_mul_f32 v[110:111], v[12:13], s[10:11] op_sel_hi:[1,0]
	v_pk_fma_f32 v[120:121], v[34:35], s[6:7], v[120:121] op_sel:[0,0,1] op_sel_hi:[1,0,0] neg_lo:[0,0,1] neg_hi:[0,0,1]
	v_pk_fma_f32 v[112:113], v[44:45], s[0:1], v[110:111] op_sel:[0,0,1] op_sel_hi:[1,0,0]
	v_pk_fma_f32 v[110:111], v[44:45], s[0:1], v[110:111] op_sel:[0,0,1] op_sel_hi:[1,0,0] neg_lo:[0,0,1] neg_hi:[0,0,1]
	v_mov_b32_e32 v114, v112
	v_mov_b32_e32 v115, v111
	v_pk_add_f32 v[100:101], v[114:115], v[100:101]
	v_pk_mul_f32 v[114:115], v[24:25], s[14:15] op_sel_hi:[1,0]
	v_mov_b32_e32 v124, v122
	v_pk_fma_f32 v[116:117], v[48:49], s[12:13], v[114:115] op_sel:[0,0,1] op_sel_hi:[1,0,0]
	v_pk_fma_f32 v[114:115], v[48:49], s[12:13], v[114:115] op_sel:[0,0,1] op_sel_hi:[1,0,0] neg_lo:[0,0,1] neg_hi:[0,0,1]
	v_mov_b32_e32 v118, v116
	v_mov_b32_e32 v119, v115
	v_pk_add_f32 v[100:101], v[118:119], v[100:101]
	ds_write2_b64 v65, v[52:53], v[100:101] offset0:66 offset1:99
	v_pk_mul_f32 v[52:53], v[14:15], s[14:15] op_sel_hi:[1,0]
	v_mov_b32_e32 v125, v121
	v_pk_fma_f32 v[100:101], v[10:11], s[12:13], v[52:53] op_sel:[0,0,1] op_sel_hi:[1,0,0]
	v_pk_fma_f32 v[52:53], v[10:11], s[12:13], v[52:53] op_sel:[0,0,1] op_sel_hi:[1,0,0] neg_lo:[0,0,1] neg_hi:[0,0,1]
	v_mov_b32_e32 v118, v100
	v_mov_b32_e32 v119, v53
	v_pk_add_f32 v[118:119], v[0:1], v[118:119]
	v_pk_mul_f32 v[14:15], v[14:15], s[18:19] op_sel_hi:[1,0]
	v_pk_add_f32 v[118:119], v[124:125], v[118:119]
	v_pk_mul_f32 v[124:125], v[16:17], s[10:11] op_sel_hi:[1,0]
	v_pk_mul_f32 v[18:19], v[18:19], s[24:25] op_sel_hi:[1,0]
	v_pk_fma_f32 v[126:127], v[40:41], s[0:1], v[124:125] op_sel:[0,0,1] op_sel_hi:[1,0,0]
	v_pk_fma_f32 v[124:125], v[40:41], s[0:1], v[124:125] op_sel:[0,0,1] op_sel_hi:[1,0,0] neg_lo:[0,0,1] neg_hi:[0,0,1]
	v_mov_b32_e32 v128, v126
	v_mov_b32_e32 v129, v125
	v_pk_add_f32 v[118:119], v[128:129], v[118:119]
	v_pk_mul_f32 v[128:129], v[12:13], s[18:19] op_sel_hi:[1,0]
	v_pk_fma_f32 v[138:139], v[34:35], s[0:1], v[18:19] op_sel:[0,0,1] op_sel_hi:[1,0,0]
	v_pk_fma_f32 v[130:131], v[44:45], s[16:17], v[128:129] op_sel:[0,0,1] op_sel_hi:[1,0,0]
	v_pk_fma_f32 v[128:129], v[44:45], s[16:17], v[128:129] op_sel:[0,0,1] op_sel_hi:[1,0,0] neg_lo:[0,0,1] neg_hi:[0,0,1]
	v_mov_b32_e32 v132, v130
	v_mov_b32_e32 v133, v129
	v_pk_add_f32 v[118:119], v[132:133], v[118:119]
	v_pk_mul_f32 v[132:133], v[24:25], s[20:21] op_sel_hi:[1,0]
	v_pk_fma_f32 v[18:19], v[34:35], s[0:1], v[18:19] op_sel:[0,0,1] op_sel_hi:[1,0,0] neg_lo:[0,0,1] neg_hi:[0,0,1]
	v_pk_fma_f32 v[134:135], v[48:49], s[2:3], v[132:133] op_sel:[0,0,1] op_sel_hi:[1,0,0]
	v_pk_fma_f32 v[132:133], v[48:49], s[2:3], v[132:133] op_sel:[0,0,1] op_sel_hi:[1,0,0] neg_lo:[0,0,1] neg_hi:[0,0,1]
	v_mov_b32_e32 v136, v134
	v_mov_b32_e32 v137, v133
	v_pk_add_f32 v[118:119], v[136:137], v[118:119]
	v_pk_fma_f32 v[136:137], v[10:11], s[16:17], v[14:15] op_sel:[0,0,1] op_sel_hi:[1,0,0]
	v_pk_fma_f32 v[10:11], v[10:11], s[16:17], v[14:15] op_sel:[0,0,1] op_sel_hi:[1,0,0] neg_lo:[0,0,1] neg_hi:[0,0,1]
	v_mov_b32_e32 v14, v136
	v_mov_b32_e32 v15, v11
	v_pk_add_f32 v[14:15], v[0:1], v[14:15]
	v_mov_b32_e32 v34, v138
	v_mov_b32_e32 v35, v19
	v_pk_mul_f32 v[16:17], v[16:17], s[14:15] op_sel_hi:[1,0]
	v_pk_add_f32 v[14:15], v[34:35], v[14:15]
	v_pk_fma_f32 v[34:35], v[40:41], s[12:13], v[16:17] op_sel:[0,0,1] op_sel_hi:[1,0,0]
	v_pk_fma_f32 v[16:17], v[40:41], s[12:13], v[16:17] op_sel:[0,0,1] op_sel_hi:[1,0,0] neg_lo:[0,0,1] neg_hi:[0,0,1]
	v_mov_b32_e32 v11, v137
	v_mov_b32_e32 v40, v34
	;; [unrolled: 1-line block ×3, first 2 shown]
	v_pk_mul_f32 v[12:13], v[12:13], s[20:21] op_sel_hi:[1,0]
	v_pk_add_f32 v[10:11], v[0:1], v[10:11]
	v_mov_b32_e32 v19, v139
	v_pk_add_f32 v[14:15], v[40:41], v[14:15]
	v_pk_fma_f32 v[40:41], v[44:45], s[2:3], v[12:13] op_sel:[0,0,1] op_sel_hi:[1,0,0]
	v_pk_fma_f32 v[12:13], v[44:45], s[2:3], v[12:13] op_sel:[0,0,1] op_sel_hi:[1,0,0] neg_lo:[0,0,1] neg_hi:[0,0,1]
	v_pk_add_f32 v[10:11], v[18:19], v[10:11]
	v_mov_b32_e32 v17, v35
	v_mov_b32_e32 v45, v13
	v_pk_add_f32 v[10:11], v[16:17], v[10:11]
	v_mov_b32_e32 v13, v41
	v_mov_b32_e32 v53, v101
	v_pk_add_f32 v[10:11], v[12:13], v[10:11]
	v_pk_add_f32 v[12:13], v[0:1], v[52:53]
	v_mov_b32_e32 v121, v123
	v_mov_b32_e32 v44, v40
	v_pk_mul_f32 v[24:25], v[24:25], s[8:9] op_sel_hi:[1,0]
	v_pk_add_f32 v[12:13], v[120:121], v[12:13]
	v_mov_b32_e32 v125, v127
	v_pk_add_f32 v[14:15], v[44:45], v[14:15]
	v_pk_fma_f32 v[44:45], v[48:49], s[6:7], v[24:25] op_sel:[0,0,1] op_sel_hi:[1,0,0]
	v_pk_fma_f32 v[24:25], v[48:49], s[6:7], v[24:25] op_sel:[0,0,1] op_sel_hi:[1,0,0] neg_lo:[0,0,1] neg_hi:[0,0,1]
	v_pk_add_f32 v[12:13], v[124:125], v[12:13]
	v_mov_b32_e32 v129, v131
	v_mov_b32_e32 v49, v25
	;; [unrolled: 1-line block ×3, first 2 shown]
	v_pk_add_f32 v[12:13], v[128:129], v[12:13]
	v_mov_b32_e32 v133, v135
	v_pk_add_f32 v[10:11], v[24:25], v[10:11]
	v_pk_add_f32 v[12:13], v[132:133], v[12:13]
	v_mov_b32_e32 v97, v99
	v_mov_b32_e32 v3, v31
	;; [unrolled: 1-line block ×3, first 2 shown]
	ds_write2_b64 v65, v[10:11], v[12:13] offset0:198 offset1:231
	v_pk_add_f32 v[10:11], v[0:1], v[96:97]
	v_mov_b32_e32 v103, v105
	v_pk_add_f32 v[2:3], v[0:1], v[2:3]
	v_mov_b32_e32 v55, v83
	;; [unrolled: 2-line block ×9, first 2 shown]
	v_mov_b32_e32 v48, v44
	v_pk_add_f32 v[10:11], v[110:111], v[10:11]
	v_mov_b32_e32 v115, v117
	v_pk_add_f32 v[2:3], v[88:89], v[2:3]
	;; [unrolled: 2-line block ×4, first 2 shown]
	v_pk_add_f32 v[10:11], v[114:115], v[10:11]
	v_pk_add_f32 v[2:3], v[92:93], v[2:3]
	;; [unrolled: 1-line block ×3, first 2 shown]
	ds_write2_b64 v65, v[118:119], v[14:15] offset0:132 offset1:165
	ds_write2_b64 v8, v[10:11], v[2:3] offset0:8 offset1:41
	ds_write_b64 v65, v[0:1] offset:2640
	s_waitcnt lgkmcnt(0)
	s_barrier
	ds_read2_b64 v[0:3], v65 offset1:33
	v_mov_b32_e32 v10, v7
	v_mad_u64_u32 v[10:11], s[0:1], s7, v64, v[10:11]
	s_mov_b32 s0, 0x3a88d0c0
	s_waitcnt lgkmcnt(0)
	v_mul_f32_e32 v9, v81, v1
	v_fmac_f32_e32 v9, v80, v0
	v_mul_f32_e32 v0, v81, v0
	v_fma_f32 v0, v80, v1, -v0
	v_mov_b32_e32 v7, v10
	v_cvt_f64_f32_e32 v[10:11], v9
	s_mov_b32 s1, 0x3f669147
	v_cvt_f64_f32_e32 v[0:1], v0
	v_mul_f64 v[10:11], v[10:11], s[0:1]
	v_mul_f64 v[0:1], v[0:1], s[0:1]
	v_cvt_f32_f64_e32 v10, v[10:11]
	v_cvt_f32_f64_e32 v11, v[0:1]
	v_mad_u64_u32 v[0:1], s[2:3], s4, v68, 0
	v_mov_b32_e32 v12, v1
	v_mad_u64_u32 v[12:13], s[2:3], s5, v68, v[12:13]
	v_mov_b32_e32 v1, v12
	v_lshl_add_u64 v[4:5], v[6:7], 3, v[4:5]
	v_lshl_add_u64 v[4:5], v[0:1], 3, v[4:5]
	v_mul_f32_e32 v0, v79, v3
	v_fmac_f32_e32 v0, v78, v2
	v_cvt_f64_f32_e32 v[0:1], v0
	v_mul_f64 v[0:1], v[0:1], s[0:1]
	v_cvt_f32_f64_e32 v6, v[0:1]
	v_mul_f32_e32 v0, v79, v2
	v_fma_f32 v0, v78, v3, -v0
	v_cvt_f64_f32_e32 v[0:1], v0
	v_mul_f64 v[0:1], v[0:1], s[0:1]
	v_cvt_f32_f64_e32 v7, v[0:1]
	ds_read2_b64 v[0:3], v65 offset0:66 offset1:99
	v_mov_b32_e32 v9, 0x108
	global_store_dwordx2 v[4:5], v[10:11], off
	v_mad_u64_u32 v[4:5], s[2:3], s4, v9, v[4:5]
	s_mulk_i32 s5, 0x108
	v_add_u32_e32 v5, s5, v5
	global_store_dwordx2 v[4:5], v[6:7], off
	s_waitcnt lgkmcnt(0)
	v_mul_f32_e32 v6, v77, v1
	v_fmac_f32_e32 v6, v76, v0
	v_mul_f32_e32 v0, v77, v0
	v_fma_f32 v0, v76, v1, -v0
	v_cvt_f64_f32_e32 v[6:7], v6
	v_cvt_f64_f32_e32 v[0:1], v0
	v_mul_f64 v[6:7], v[6:7], s[0:1]
	v_mul_f64 v[0:1], v[0:1], s[0:1]
	v_cvt_f32_f64_e32 v6, v[6:7]
	v_cvt_f32_f64_e32 v7, v[0:1]
	v_mul_f32_e32 v0, v71, v3
	v_fmac_f32_e32 v0, v70, v2
	v_mad_u64_u32 v[4:5], s[2:3], s4, v9, v[4:5]
	v_cvt_f64_f32_e32 v[0:1], v0
	v_add_u32_e32 v5, s5, v5
	v_mul_f64 v[0:1], v[0:1], s[0:1]
	global_store_dwordx2 v[4:5], v[6:7], off
	v_cvt_f32_f64_e32 v6, v[0:1]
	v_mul_f32_e32 v0, v71, v2
	v_fma_f32 v0, v70, v3, -v0
	v_cvt_f64_f32_e32 v[0:1], v0
	v_mul_f64 v[0:1], v[0:1], s[0:1]
	v_cvt_f32_f64_e32 v7, v[0:1]
	ds_read2_b64 v[0:3], v65 offset0:132 offset1:165
	v_mad_u64_u32 v[4:5], s[2:3], s4, v9, v[4:5]
	v_add_u32_e32 v5, s5, v5
	global_store_dwordx2 v[4:5], v[6:7], off
	s_waitcnt lgkmcnt(0)
	v_mul_f32_e32 v6, v75, v1
	v_fmac_f32_e32 v6, v74, v0
	v_mul_f32_e32 v0, v75, v0
	v_fma_f32 v0, v74, v1, -v0
	v_cvt_f64_f32_e32 v[6:7], v6
	v_cvt_f64_f32_e32 v[0:1], v0
	v_mul_f64 v[6:7], v[6:7], s[0:1]
	v_mul_f64 v[0:1], v[0:1], s[0:1]
	v_cvt_f32_f64_e32 v6, v[6:7]
	v_cvt_f32_f64_e32 v7, v[0:1]
	v_mul_f32_e32 v0, v73, v3
	v_fmac_f32_e32 v0, v72, v2
	v_mad_u64_u32 v[4:5], s[2:3], s4, v9, v[4:5]
	v_cvt_f64_f32_e32 v[0:1], v0
	v_add_u32_e32 v5, s5, v5
	v_mul_f64 v[0:1], v[0:1], s[0:1]
	global_store_dwordx2 v[4:5], v[6:7], off
	v_cvt_f32_f64_e32 v6, v[0:1]
	v_mul_f32_e32 v0, v73, v2
	v_fma_f32 v0, v72, v3, -v0
	v_cvt_f64_f32_e32 v[0:1], v0
	v_mul_f64 v[0:1], v[0:1], s[0:1]
	v_cvt_f32_f64_e32 v7, v[0:1]
	ds_read2_b64 v[0:3], v65 offset0:198 offset1:231
	v_mad_u64_u32 v[4:5], s[2:3], s4, v9, v[4:5]
	;; [unrolled: 28-line block ×3, first 2 shown]
	v_add_u32_e32 v5, s5, v5
	global_store_dwordx2 v[4:5], v[6:7], off
	s_waitcnt lgkmcnt(0)
	v_mul_f32_e32 v6, v61, v1
	v_fmac_f32_e32 v6, v60, v0
	v_mul_f32_e32 v0, v61, v0
	v_fma_f32 v0, v60, v1, -v0
	v_cvt_f64_f32_e32 v[6:7], v6
	v_cvt_f64_f32_e32 v[0:1], v0
	v_mul_f64 v[6:7], v[6:7], s[0:1]
	v_mul_f64 v[0:1], v[0:1], s[0:1]
	v_cvt_f32_f64_e32 v6, v[6:7]
	v_cvt_f32_f64_e32 v7, v[0:1]
	v_mad_u64_u32 v[0:1], s[2:3], s4, v9, v[4:5]
	v_mul_f32_e32 v4, v59, v3
	v_fmac_f32_e32 v4, v58, v2
	v_mul_f32_e32 v2, v59, v2
	v_fma_f32 v2, v58, v3, -v2
	v_cvt_f64_f32_e32 v[4:5], v4
	v_cvt_f64_f32_e32 v[2:3], v2
	v_mul_f64 v[4:5], v[4:5], s[0:1]
	v_mul_f64 v[2:3], v[2:3], s[0:1]
	v_cvt_f32_f64_e32 v4, v[4:5]
	v_cvt_f32_f64_e32 v5, v[2:3]
	ds_read_b64 v[2:3], v65 offset:2640
	v_add_u32_e32 v1, s5, v1
	global_store_dwordx2 v[0:1], v[6:7], off
	v_mad_u64_u32 v[0:1], s[2:3], s4, v9, v[0:1]
	v_add_u32_e32 v1, s5, v1
	global_store_dwordx2 v[0:1], v[4:5], off
	s_waitcnt lgkmcnt(0)
	v_mul_f32_e32 v4, v57, v3
	v_fmac_f32_e32 v4, v56, v2
	v_mul_f32_e32 v2, v57, v2
	v_fma_f32 v2, v56, v3, -v2
	v_cvt_f64_f32_e32 v[4:5], v4
	v_cvt_f64_f32_e32 v[2:3], v2
	v_mul_f64 v[4:5], v[4:5], s[0:1]
	v_mul_f64 v[2:3], v[2:3], s[0:1]
	v_mad_u64_u32 v[0:1], s[0:1], s4, v9, v[0:1]
	v_cvt_f32_f64_e32 v4, v[4:5]
	v_cvt_f32_f64_e32 v5, v[2:3]
	v_add_u32_e32 v1, s5, v1
	global_store_dwordx2 v[0:1], v[4:5], off
.LBB0_10:
	s_endpgm
	.section	.rodata,"a",@progbits
	.p2align	6, 0x0
	.amdhsa_kernel bluestein_single_back_len363_dim1_sp_op_CI_CI
		.amdhsa_group_segment_fixed_size 8712
		.amdhsa_private_segment_fixed_size 0
		.amdhsa_kernarg_size 104
		.amdhsa_user_sgpr_count 2
		.amdhsa_user_sgpr_dispatch_ptr 0
		.amdhsa_user_sgpr_queue_ptr 0
		.amdhsa_user_sgpr_kernarg_segment_ptr 1
		.amdhsa_user_sgpr_dispatch_id 0
		.amdhsa_user_sgpr_kernarg_preload_length 0
		.amdhsa_user_sgpr_kernarg_preload_offset 0
		.amdhsa_user_sgpr_private_segment_size 0
		.amdhsa_uses_dynamic_stack 0
		.amdhsa_enable_private_segment 0
		.amdhsa_system_sgpr_workgroup_id_x 1
		.amdhsa_system_sgpr_workgroup_id_y 0
		.amdhsa_system_sgpr_workgroup_id_z 0
		.amdhsa_system_sgpr_workgroup_info 0
		.amdhsa_system_vgpr_workitem_id 0
		.amdhsa_next_free_vgpr 214
		.amdhsa_next_free_sgpr 46
		.amdhsa_accum_offset 216
		.amdhsa_reserve_vcc 1
		.amdhsa_float_round_mode_32 0
		.amdhsa_float_round_mode_16_64 0
		.amdhsa_float_denorm_mode_32 3
		.amdhsa_float_denorm_mode_16_64 3
		.amdhsa_dx10_clamp 1
		.amdhsa_ieee_mode 1
		.amdhsa_fp16_overflow 0
		.amdhsa_tg_split 0
		.amdhsa_exception_fp_ieee_invalid_op 0
		.amdhsa_exception_fp_denorm_src 0
		.amdhsa_exception_fp_ieee_div_zero 0
		.amdhsa_exception_fp_ieee_overflow 0
		.amdhsa_exception_fp_ieee_underflow 0
		.amdhsa_exception_fp_ieee_inexact 0
		.amdhsa_exception_int_div_zero 0
	.end_amdhsa_kernel
	.text
.Lfunc_end0:
	.size	bluestein_single_back_len363_dim1_sp_op_CI_CI, .Lfunc_end0-bluestein_single_back_len363_dim1_sp_op_CI_CI
                                        ; -- End function
	.section	.AMDGPU.csdata,"",@progbits
; Kernel info:
; codeLenInByte = 12200
; NumSgprs: 52
; NumVgprs: 214
; NumAgprs: 0
; TotalNumVgprs: 214
; ScratchSize: 0
; MemoryBound: 0
; FloatMode: 240
; IeeeMode: 1
; LDSByteSize: 8712 bytes/workgroup (compile time only)
; SGPRBlocks: 6
; VGPRBlocks: 26
; NumSGPRsForWavesPerEU: 52
; NumVGPRsForWavesPerEU: 214
; AccumOffset: 216
; Occupancy: 2
; WaveLimiterHint : 1
; COMPUTE_PGM_RSRC2:SCRATCH_EN: 0
; COMPUTE_PGM_RSRC2:USER_SGPR: 2
; COMPUTE_PGM_RSRC2:TRAP_HANDLER: 0
; COMPUTE_PGM_RSRC2:TGID_X_EN: 1
; COMPUTE_PGM_RSRC2:TGID_Y_EN: 0
; COMPUTE_PGM_RSRC2:TGID_Z_EN: 0
; COMPUTE_PGM_RSRC2:TIDIG_COMP_CNT: 0
; COMPUTE_PGM_RSRC3_GFX90A:ACCUM_OFFSET: 53
; COMPUTE_PGM_RSRC3_GFX90A:TG_SPLIT: 0
	.text
	.p2alignl 6, 3212836864
	.fill 256, 4, 3212836864
	.type	__hip_cuid_c8a8d47897f23522,@object ; @__hip_cuid_c8a8d47897f23522
	.section	.bss,"aw",@nobits
	.globl	__hip_cuid_c8a8d47897f23522
__hip_cuid_c8a8d47897f23522:
	.byte	0                               ; 0x0
	.size	__hip_cuid_c8a8d47897f23522, 1

	.ident	"AMD clang version 19.0.0git (https://github.com/RadeonOpenCompute/llvm-project roc-6.4.0 25133 c7fe45cf4b819c5991fe208aaa96edf142730f1d)"
	.section	".note.GNU-stack","",@progbits
	.addrsig
	.addrsig_sym __hip_cuid_c8a8d47897f23522
	.amdgpu_metadata
---
amdhsa.kernels:
  - .agpr_count:     0
    .args:
      - .actual_access:  read_only
        .address_space:  global
        .offset:         0
        .size:           8
        .value_kind:     global_buffer
      - .actual_access:  read_only
        .address_space:  global
        .offset:         8
        .size:           8
        .value_kind:     global_buffer
      - .actual_access:  read_only
        .address_space:  global
        .offset:         16
        .size:           8
        .value_kind:     global_buffer
      - .actual_access:  read_only
        .address_space:  global
        .offset:         24
        .size:           8
        .value_kind:     global_buffer
      - .actual_access:  read_only
        .address_space:  global
        .offset:         32
        .size:           8
        .value_kind:     global_buffer
      - .offset:         40
        .size:           8
        .value_kind:     by_value
      - .address_space:  global
        .offset:         48
        .size:           8
        .value_kind:     global_buffer
      - .address_space:  global
        .offset:         56
        .size:           8
        .value_kind:     global_buffer
      - .address_space:  global
        .offset:         64
        .size:           8
        .value_kind:     global_buffer
      - .address_space:  global
        .offset:         72
        .size:           8
        .value_kind:     global_buffer
      - .offset:         80
        .size:           4
        .value_kind:     by_value
      - .address_space:  global
        .offset:         88
        .size:           8
        .value_kind:     global_buffer
      - .address_space:  global
        .offset:         96
        .size:           8
        .value_kind:     global_buffer
    .group_segment_fixed_size: 8712
    .kernarg_segment_align: 8
    .kernarg_segment_size: 104
    .language:       OpenCL C
    .language_version:
      - 2
      - 0
    .max_flat_workgroup_size: 99
    .name:           bluestein_single_back_len363_dim1_sp_op_CI_CI
    .private_segment_fixed_size: 0
    .sgpr_count:     52
    .sgpr_spill_count: 0
    .symbol:         bluestein_single_back_len363_dim1_sp_op_CI_CI.kd
    .uniform_work_group_size: 1
    .uses_dynamic_stack: false
    .vgpr_count:     214
    .vgpr_spill_count: 0
    .wavefront_size: 64
amdhsa.target:   amdgcn-amd-amdhsa--gfx950
amdhsa.version:
  - 1
  - 2
...

	.end_amdgpu_metadata
